;; amdgpu-corpus repo=pytorch/pytorch kind=compiled arch=gfx906 opt=O3
	.amdgcn_target "amdgcn-amd-amdhsa--gfx906"
	.amdhsa_code_object_version 6
	.section	.text._ZN2at6native12_GLOBAL__N_135_unfold_backward_elementwise_kernelILi256ELi4EZNS1_32_unfold_backward_internal_kernelIhEEvRNS_14TensorIteratorEllllllEUliE_EEviT1_,"axG",@progbits,_ZN2at6native12_GLOBAL__N_135_unfold_backward_elementwise_kernelILi256ELi4EZNS1_32_unfold_backward_internal_kernelIhEEvRNS_14TensorIteratorEllllllEUliE_EEviT1_,comdat
	.globl	_ZN2at6native12_GLOBAL__N_135_unfold_backward_elementwise_kernelILi256ELi4EZNS1_32_unfold_backward_internal_kernelIhEEvRNS_14TensorIteratorEllllllEUliE_EEviT1_ ; -- Begin function _ZN2at6native12_GLOBAL__N_135_unfold_backward_elementwise_kernelILi256ELi4EZNS1_32_unfold_backward_internal_kernelIhEEvRNS_14TensorIteratorEllllllEUliE_EEviT1_
	.p2align	8
	.type	_ZN2at6native12_GLOBAL__N_135_unfold_backward_elementwise_kernelILi256ELi4EZNS1_32_unfold_backward_internal_kernelIhEEvRNS_14TensorIteratorEllllllEUliE_EEviT1_,@function
_ZN2at6native12_GLOBAL__N_135_unfold_backward_elementwise_kernelILi256ELi4EZNS1_32_unfold_backward_internal_kernelIhEEvRNS_14TensorIteratorEllllllEUliE_EEviT1_: ; @_ZN2at6native12_GLOBAL__N_135_unfold_backward_elementwise_kernelILi256ELi4EZNS1_32_unfold_backward_internal_kernelIhEEvRNS_14TensorIteratorEllllllEUliE_EEviT1_
; %bb.0:
	s_load_dword s51, s[4:5], 0x0
	s_load_dwordx8 s[24:31], s[4:5], 0x8
	s_add_u32 s33, s4, 8
	v_lshl_or_b32 v11, s6, 10, v0
	s_addc_u32 s50, s5, 0
	s_load_dwordx16 s[8:23], s[4:5], 0x190
	s_load_dwordx4 s[36:39], s[4:5], 0xcc
	s_load_dwordx2 s[6:7], s[4:5], 0xdc
	s_waitcnt lgkmcnt(0)
	v_sub_co_u32_e64 v0, s[0:1], s24, 1
	s_xor_b64 s[40:41], s[0:1], -1
	v_readfirstlane_b32 s0, v0
	s_min_u32 s31, s0, 15
	s_cmp_gt_u32 s24, 1
	v_cmp_lt_u32_e64 s[0:1], 1, v0
	s_cselect_b64 s[34:35], -1, 0
	s_add_u32 s4, s18, -1
	v_cndmask_b32_e64 v0, 0, 1, s[0:1]
	s_mov_b64 s[2:3], -1
	s_addc_u32 s5, s19, -1
	v_cmp_gt_i32_e32 vcc, s51, v11
	v_cmp_ne_u32_e64 s[0:1], 1, v0
	s_and_saveexec_b64 s[18:19], vcc
	s_cbranch_execnz .LBB0_4
; %bb.1:
	s_or_b64 exec, exec, s[18:19]
	v_cmp_gt_i32_e32 vcc, s51, v11
	s_and_saveexec_b64 s[18:19], vcc
	s_cbranch_execnz .LBB0_28
.LBB0_2:
	s_or_b64 exec, exec, s[18:19]
	v_cmp_gt_i32_e32 vcc, s51, v11
	s_and_saveexec_b64 s[18:19], vcc
	s_cbranch_execnz .LBB0_52
.LBB0_3:
	s_or_b64 exec, exec, s[18:19]
	v_cmp_gt_i32_e32 vcc, s51, v11
	s_and_saveexec_b64 s[2:3], vcc
	s_cbranch_execnz .LBB0_76
	s_branch .LBB0_99
.LBB0_4:
	s_and_b64 vcc, exec, s[0:1]
                                        ; implicit-def: $vgpr2
                                        ; implicit-def: $vgpr0
                                        ; implicit-def: $vgpr4
	s_cbranch_vccnz .LBB0_11
; %bb.5:
	v_mov_b32_e32 v2, 0
	s_andn2_b64 vcc, exec, s[40:41]
	v_mov_b32_e32 v0, 0
	v_mov_b32_e32 v4, 0
	s_cbranch_vccnz .LBB0_10
; %bb.6:
	s_add_i32 s2, s31, 1
	s_and_b32 s24, s2, 30
	s_add_u32 s2, s33, 0xffffffe8
	s_addc_u32 s3, s50, -1
	v_mov_b32_e32 v4, 0
	v_mov_b32_e32 v0, 0
	;; [unrolled: 1-line block ×4, first 2 shown]
.LBB0_7:                                ; =>This Inner Loop Header: Depth=1
	s_load_dwordx4 s[44:47], s[2:3], 0x1c
	s_load_dwordx2 s[42:43], s[2:3], 0x2c
	s_load_dwordx2 s[48:49], s[2:3], 0xec
	s_load_dwordx4 s[52:55], s[2:3], 0xdc
	s_add_u32 s2, s2, 24
	s_waitcnt lgkmcnt(0)
	v_mul_hi_u32 v3, s45, v1
	s_addc_u32 s3, s3, 0
	s_add_i32 s24, s24, -2
	s_cmp_lg_u32 s24, 0
	v_add_u32_e32 v3, v1, v3
	v_lshrrev_b32_e32 v3, s46, v3
	v_mul_lo_u32 v5, v3, s44
	v_mul_hi_u32 v6, s42, v3
	v_sub_u32_e32 v5, v1, v5
	v_add_u32_e32 v1, v3, v6
	v_lshrrev_b32_e32 v1, s43, v1
	v_mul_lo_u32 v8, v1, s47
	v_mul_lo_u32 v6, v5, s52
	;; [unrolled: 1-line block ×4, first 2 shown]
	v_sub_u32_e32 v3, v3, v8
	v_mul_lo_u32 v8, v3, s55
	v_mul_lo_u32 v9, v3, s48
	v_mul_lo_u32 v3, v3, s49
	v_add3_u32 v2, v6, v2, v8
	v_add3_u32 v0, v7, v0, v9
	;; [unrolled: 1-line block ×3, first 2 shown]
	s_cbranch_scc1 .LBB0_7
; %bb.8:
	s_bitcmp1_b32 s31, 0
	s_cselect_b64 s[42:43], -1, 0
	s_and_b64 vcc, exec, s[42:43]
	s_cbranch_vccnz .LBB0_10
; %bb.9:
	s_load_dwordx2 s[42:43], s[2:3], 0x1c
	s_load_dword s24, s[2:3], 0x24
	s_load_dwordx2 s[44:45], s[2:3], 0xdc
	s_waitcnt lgkmcnt(0)
	v_mul_hi_u32 v3, s43, v1
	v_add_u32_e32 v3, v1, v3
	v_lshrrev_b32_e32 v3, s24, v3
	v_mul_lo_u32 v3, v3, s42
	s_load_dword s24, s[2:3], 0xe4
	v_sub_u32_e32 v5, v1, v3
	v_mad_u64_u32 v[2:3], s[2:3], v5, s44, v[2:3]
	v_mad_u64_u32 v[0:1], s[2:3], v5, s45, v[0:1]
	s_waitcnt lgkmcnt(0)
	v_mad_u64_u32 v[4:5], s[2:3], v5, s24, v[4:5]
.LBB0_10:
	s_mov_b64 s[2:3], 0
.LBB0_11:
	s_andn2_b64 vcc, exec, s[2:3]
	s_cbranch_vccnz .LBB0_14
; %bb.12:
	v_mul_hi_u32 v0, s26, v11
	s_andn2_b64 vcc, exec, s[34:35]
	v_add_u32_e32 v0, v11, v0
	v_lshrrev_b32_e32 v1, s27, v0
	v_mul_lo_u32 v0, v1, s25
	v_sub_u32_e32 v3, v11, v0
	v_mul_lo_u32 v2, v3, s36
	v_mul_lo_u32 v0, v3, s37
	;; [unrolled: 1-line block ×3, first 2 shown]
	s_cbranch_vccnz .LBB0_14
; %bb.13:
	v_mul_hi_u32 v3, s29, v1
	v_add_u32_e32 v3, v1, v3
	v_lshrrev_b32_e32 v3, s30, v3
	v_mul_lo_u32 v3, v3, s28
	v_sub_u32_e32 v5, v1, v3
	v_mad_u64_u32 v[2:3], s[2:3], v5, s39, v[2:3]
	v_mad_u64_u32 v[0:1], s[2:3], v5, s6, v[0:1]
	;; [unrolled: 1-line block ×3, first 2 shown]
.LBB0_14:
	global_load_dwordx2 v[3:4], v4, s[12:13]
	v_mov_b32_e32 v5, 0
	v_mov_b32_e32 v6, 0
	s_waitcnt vmcnt(0)
	v_cmp_lt_i64_e32 vcc, s[14:15], v[3:4]
	s_and_saveexec_b64 s[42:43], vcc
	s_cbranch_execz .LBB0_20
; %bb.15:
	v_mov_b32_e32 v5, s15
	v_subrev_co_u32_e32 v1, vcc, s14, v3
	v_subb_co_u32_e32 v7, vcc, v4, v5, vcc
	v_or_b32_e32 v6, s17, v7
	v_mov_b32_e32 v5, 0
	v_cmp_ne_u64_e32 vcc, 0, v[5:6]
                                        ; implicit-def: $vgpr5_vgpr6
	s_and_saveexec_b64 s[2:3], vcc
	s_xor_b64 s[44:45], exec, s[2:3]
	s_cbranch_execz .LBB0_17
; %bb.16:
	s_ashr_i32 s46, s17, 31
	s_add_u32 s2, s16, s46
	s_mov_b32 s47, s46
	s_addc_u32 s3, s17, s46
	s_xor_b64 s[48:49], s[2:3], s[46:47]
	v_cvt_f32_u32_e32 v5, s48
	v_cvt_f32_u32_e32 v6, s49
	s_sub_u32 s24, 0, s48
	s_subb_u32 s47, 0, s49
	v_ashrrev_i32_e32 v9, 31, v7
	v_madmk_f32 v5, v6, 0x4f800000, v5
	v_rcp_f32_e32 v5, v5
	v_add_co_u32_e32 v1, vcc, v1, v9
	v_xor_b32_e32 v1, v1, v9
	v_mul_f32_e32 v5, 0x5f7ffffc, v5
	v_mul_f32_e32 v6, 0x2f800000, v5
	v_trunc_f32_e32 v6, v6
	v_madmk_f32 v5, v6, 0xcf800000, v5
	v_cvt_u32_f32_e32 v6, v6
	v_cvt_u32_f32_e32 v5, v5
	v_addc_co_u32_e32 v7, vcc, v7, v9, vcc
	v_readfirstlane_b32 s52, v6
	v_readfirstlane_b32 s2, v5
	s_mul_i32 s3, s24, s52
	s_mul_hi_u32 s54, s24, s2
	s_mul_i32 s53, s47, s2
	s_add_i32 s3, s54, s3
	s_add_i32 s3, s3, s53
	s_mul_i32 s55, s24, s2
	s_mul_i32 s54, s2, s3
	s_mul_hi_u32 s56, s2, s55
	s_mul_hi_u32 s53, s2, s3
	s_add_u32 s54, s56, s54
	s_addc_u32 s53, 0, s53
	s_mul_hi_u32 s57, s52, s55
	s_mul_i32 s55, s52, s55
	s_add_u32 s54, s54, s55
	s_mul_hi_u32 s56, s52, s3
	s_addc_u32 s53, s53, s57
	s_addc_u32 s54, s56, 0
	s_mul_i32 s3, s52, s3
	s_add_u32 s3, s53, s3
	s_addc_u32 s53, 0, s54
	s_add_u32 s54, s2, s3
	s_cselect_b64 s[2:3], -1, 0
	s_cmp_lg_u64 s[2:3], 0
	s_addc_u32 s52, s52, s53
	s_mul_i32 s2, s24, s52
	s_mul_hi_u32 s3, s24, s54
	s_add_i32 s2, s3, s2
	s_mul_i32 s47, s47, s54
	s_add_i32 s2, s2, s47
	s_mul_i32 s24, s24, s54
	s_mul_hi_u32 s47, s52, s24
	s_mul_i32 s53, s52, s24
	s_mul_i32 s56, s54, s2
	s_mul_hi_u32 s24, s54, s24
	s_mul_hi_u32 s55, s54, s2
	s_add_u32 s24, s24, s56
	s_addc_u32 s55, 0, s55
	s_add_u32 s24, s24, s53
	s_mul_hi_u32 s3, s52, s2
	s_addc_u32 s24, s55, s47
	s_addc_u32 s3, s3, 0
	s_mul_i32 s2, s52, s2
	s_add_u32 s2, s24, s2
	s_addc_u32 s24, 0, s3
	s_add_u32 s47, s54, s2
	s_cselect_b64 s[2:3], -1, 0
	s_cmp_lg_u64 s[2:3], 0
	s_addc_u32 s24, s52, s24
	v_mad_u64_u32 v[5:6], s[2:3], v1, s24, 0
	v_mul_hi_u32 v8, v1, s47
	v_xor_b32_e32 v10, v7, v9
	v_add_co_u32_e32 v12, vcc, v8, v5
	v_addc_co_u32_e32 v13, vcc, 0, v6, vcc
	v_mad_u64_u32 v[5:6], s[2:3], v10, s47, 0
	v_mad_u64_u32 v[7:8], s[2:3], v10, s24, 0
	v_add_co_u32_e32 v5, vcc, v12, v5
	v_addc_co_u32_e32 v5, vcc, v13, v6, vcc
	v_addc_co_u32_e32 v6, vcc, 0, v8, vcc
	v_add_co_u32_e32 v7, vcc, v5, v7
	v_addc_co_u32_e32 v8, vcc, 0, v6, vcc
	v_mul_lo_u32 v12, s49, v7
	v_mul_lo_u32 v13, s48, v8
	v_mad_u64_u32 v[5:6], s[2:3], s48, v7, 0
	v_add3_u32 v6, v6, v13, v12
	v_sub_u32_e32 v12, v10, v6
	v_mov_b32_e32 v13, s49
	v_sub_co_u32_e32 v1, vcc, v1, v5
	v_subb_co_u32_e64 v5, s[2:3], v12, v13, vcc
	v_subrev_co_u32_e64 v12, s[2:3], s48, v1
	v_subbrev_co_u32_e64 v5, s[2:3], 0, v5, s[2:3]
	v_cmp_le_u32_e64 s[2:3], s49, v5
	v_cndmask_b32_e64 v13, 0, -1, s[2:3]
	v_cmp_le_u32_e64 s[2:3], s48, v12
	v_cndmask_b32_e64 v12, 0, -1, s[2:3]
	v_cmp_eq_u32_e64 s[2:3], s49, v5
	v_cndmask_b32_e64 v5, v13, v12, s[2:3]
	v_add_co_u32_e64 v12, s[2:3], 2, v7
	v_subb_co_u32_e32 v6, vcc, v10, v6, vcc
	v_addc_co_u32_e64 v13, s[2:3], 0, v8, s[2:3]
	v_cmp_le_u32_e32 vcc, s49, v6
	v_add_co_u32_e64 v14, s[2:3], 1, v7
	v_cndmask_b32_e64 v10, 0, -1, vcc
	v_cmp_le_u32_e32 vcc, s48, v1
	v_addc_co_u32_e64 v15, s[2:3], 0, v8, s[2:3]
	v_cndmask_b32_e64 v1, 0, -1, vcc
	v_cmp_eq_u32_e32 vcc, s49, v6
	v_cmp_ne_u32_e64 s[2:3], 0, v5
	v_cndmask_b32_e32 v1, v10, v1, vcc
	v_cndmask_b32_e64 v5, v15, v13, s[2:3]
	v_cmp_ne_u32_e32 vcc, 0, v1
	v_cndmask_b32_e32 v1, v8, v5, vcc
	v_cndmask_b32_e64 v5, v14, v12, s[2:3]
	v_cndmask_b32_e32 v5, v7, v5, vcc
	v_xor_b32_e32 v6, s46, v9
	v_xor_b32_e32 v5, v5, v6
	;; [unrolled: 1-line block ×3, first 2 shown]
	v_sub_co_u32_e32 v5, vcc, v5, v6
	v_subb_co_u32_e32 v6, vcc, v1, v6, vcc
                                        ; implicit-def: $vgpr1
.LBB0_17:
	s_andn2_saveexec_b64 s[2:3], s[44:45]
	s_cbranch_execz .LBB0_19
; %bb.18:
	v_cvt_f32_u32_e32 v5, s16
	s_sub_i32 s24, 0, s16
	v_rcp_iflag_f32_e32 v5, v5
	v_mul_f32_e32 v5, 0x4f7ffffe, v5
	v_cvt_u32_f32_e32 v5, v5
	v_mul_lo_u32 v6, s24, v5
	v_mul_hi_u32 v6, v5, v6
	v_add_u32_e32 v5, v5, v6
	v_mul_hi_u32 v5, v1, v5
	v_mul_lo_u32 v6, v5, s16
	v_add_u32_e32 v7, 1, v5
	v_sub_u32_e32 v1, v1, v6
	v_subrev_u32_e32 v6, s16, v1
	v_cmp_le_u32_e32 vcc, s16, v1
	v_cndmask_b32_e32 v1, v1, v6, vcc
	v_cndmask_b32_e32 v5, v5, v7, vcc
	v_add_u32_e32 v6, 1, v5
	v_cmp_le_u32_e32 vcc, s16, v1
	v_cndmask_b32_e32 v5, v5, v6, vcc
	v_mov_b32_e32 v6, 0
.LBB0_19:
	s_or_b64 exec, exec, s[2:3]
.LBB0_20:
	s_or_b64 exec, exec, s[42:43]
	v_or_b32_e32 v8, s17, v4
	v_mov_b32_e32 v7, 0
	v_cmp_ne_u64_e32 vcc, 0, v[7:8]
                                        ; implicit-def: $vgpr7_vgpr8
	s_and_saveexec_b64 s[2:3], vcc
	s_xor_b64 s[42:43], exec, s[2:3]
	s_cbranch_execz .LBB0_22
; %bb.21:
	s_ashr_i32 s44, s17, 31
	s_add_u32 s2, s16, s44
	s_mov_b32 s45, s44
	s_addc_u32 s3, s17, s44
	s_xor_b64 s[46:47], s[2:3], s[44:45]
	v_cvt_f32_u32_e32 v1, s46
	v_cvt_f32_u32_e32 v7, s47
	s_sub_u32 s24, 0, s46
	s_subb_u32 s45, 0, s47
	v_madmk_f32 v1, v7, 0x4f800000, v1
	v_rcp_f32_e32 v1, v1
	v_mul_f32_e32 v1, 0x5f7ffffc, v1
	v_mul_f32_e32 v7, 0x2f800000, v1
	v_trunc_f32_e32 v7, v7
	v_madmk_f32 v1, v7, 0xcf800000, v1
	v_cvt_u32_f32_e32 v7, v7
	v_cvt_u32_f32_e32 v1, v1
	v_readfirstlane_b32 s48, v7
	v_readfirstlane_b32 s2, v1
	s_mul_i32 s3, s24, s48
	s_mul_hi_u32 s52, s24, s2
	s_mul_i32 s49, s45, s2
	s_add_i32 s3, s52, s3
	s_add_i32 s3, s3, s49
	s_mul_i32 s53, s24, s2
	s_mul_i32 s52, s2, s3
	s_mul_hi_u32 s54, s2, s53
	s_mul_hi_u32 s49, s2, s3
	s_add_u32 s52, s54, s52
	s_addc_u32 s49, 0, s49
	s_mul_hi_u32 s55, s48, s53
	s_mul_i32 s53, s48, s53
	s_add_u32 s52, s52, s53
	s_mul_hi_u32 s54, s48, s3
	s_addc_u32 s49, s49, s55
	s_addc_u32 s52, s54, 0
	s_mul_i32 s3, s48, s3
	s_add_u32 s3, s49, s3
	s_addc_u32 s49, 0, s52
	s_add_u32 s52, s2, s3
	s_cselect_b64 s[2:3], -1, 0
	s_cmp_lg_u64 s[2:3], 0
	s_addc_u32 s48, s48, s49
	s_mul_i32 s2, s24, s48
	s_mul_hi_u32 s3, s24, s52
	s_add_i32 s2, s3, s2
	s_mul_i32 s45, s45, s52
	s_add_i32 s2, s2, s45
	s_mul_i32 s24, s24, s52
	s_mul_hi_u32 s45, s48, s24
	s_mul_i32 s49, s48, s24
	s_mul_i32 s54, s52, s2
	s_mul_hi_u32 s24, s52, s24
	s_mul_hi_u32 s53, s52, s2
	s_add_u32 s24, s24, s54
	s_addc_u32 s53, 0, s53
	s_add_u32 s24, s24, s49
	s_mul_hi_u32 s3, s48, s2
	s_addc_u32 s24, s53, s45
	s_addc_u32 s3, s3, 0
	s_mul_i32 s2, s48, s2
	s_add_u32 s2, s24, s2
	s_addc_u32 s24, 0, s3
	s_add_u32 s45, s52, s2
	s_cselect_b64 s[2:3], -1, 0
	v_ashrrev_i32_e32 v1, 31, v4
	s_cmp_lg_u64 s[2:3], 0
	v_add_co_u32_e32 v7, vcc, v3, v1
	s_addc_u32 s24, s48, s24
	v_xor_b32_e32 v12, v7, v1
	v_mad_u64_u32 v[7:8], s[2:3], v12, s24, 0
	v_mul_hi_u32 v10, v12, s45
	v_addc_co_u32_e32 v9, vcc, v4, v1, vcc
	v_xor_b32_e32 v13, v9, v1
	v_add_co_u32_e32 v14, vcc, v10, v7
	v_addc_co_u32_e32 v15, vcc, 0, v8, vcc
	v_mad_u64_u32 v[7:8], s[2:3], v13, s45, 0
	v_mad_u64_u32 v[9:10], s[2:3], v13, s24, 0
	v_add_co_u32_e32 v7, vcc, v14, v7
	v_addc_co_u32_e32 v7, vcc, v15, v8, vcc
	v_addc_co_u32_e32 v8, vcc, 0, v10, vcc
	v_add_co_u32_e32 v9, vcc, v7, v9
	v_addc_co_u32_e32 v10, vcc, 0, v8, vcc
	v_mul_lo_u32 v14, s47, v9
	v_mul_lo_u32 v15, s46, v10
	v_mad_u64_u32 v[7:8], s[2:3], s46, v9, 0
	v_xor_b32_e32 v1, s44, v1
	v_add3_u32 v8, v8, v15, v14
	v_sub_u32_e32 v14, v13, v8
	v_mov_b32_e32 v15, s47
	v_sub_co_u32_e32 v7, vcc, v12, v7
	v_subb_co_u32_e64 v12, s[2:3], v14, v15, vcc
	v_subrev_co_u32_e64 v14, s[2:3], s46, v7
	v_subbrev_co_u32_e64 v12, s[2:3], 0, v12, s[2:3]
	v_cmp_le_u32_e64 s[2:3], s47, v12
	v_cndmask_b32_e64 v15, 0, -1, s[2:3]
	v_cmp_le_u32_e64 s[2:3], s46, v14
	v_cndmask_b32_e64 v14, 0, -1, s[2:3]
	v_cmp_eq_u32_e64 s[2:3], s47, v12
	v_cndmask_b32_e64 v12, v15, v14, s[2:3]
	v_add_co_u32_e64 v14, s[2:3], 2, v9
	v_subb_co_u32_e32 v8, vcc, v13, v8, vcc
	v_addc_co_u32_e64 v15, s[2:3], 0, v10, s[2:3]
	v_cmp_le_u32_e32 vcc, s47, v8
	v_add_co_u32_e64 v16, s[2:3], 1, v9
	v_cndmask_b32_e64 v13, 0, -1, vcc
	v_cmp_le_u32_e32 vcc, s46, v7
	v_addc_co_u32_e64 v17, s[2:3], 0, v10, s[2:3]
	v_cndmask_b32_e64 v7, 0, -1, vcc
	v_cmp_eq_u32_e32 vcc, s47, v8
	v_cmp_ne_u32_e64 s[2:3], 0, v12
	v_cndmask_b32_e32 v7, v13, v7, vcc
	v_cndmask_b32_e64 v12, v17, v15, s[2:3]
	v_cmp_ne_u32_e32 vcc, 0, v7
	v_cndmask_b32_e64 v8, v16, v14, s[2:3]
	v_cndmask_b32_e32 v7, v10, v12, vcc
	v_cndmask_b32_e32 v8, v9, v8, vcc
	v_xor_b32_e32 v9, v7, v1
	v_xor_b32_e32 v7, v8, v1
	v_sub_co_u32_e32 v7, vcc, v7, v1
	v_subb_co_u32_e32 v8, vcc, v9, v1, vcc
.LBB0_22:
	s_andn2_saveexec_b64 s[2:3], s[42:43]
	s_cbranch_execz .LBB0_24
; %bb.23:
	v_cvt_f32_u32_e32 v1, s16
	s_sub_i32 s24, 0, s16
	v_rcp_iflag_f32_e32 v1, v1
	v_mul_f32_e32 v1, 0x4f7ffffe, v1
	v_cvt_u32_f32_e32 v1, v1
	v_mul_lo_u32 v7, s24, v1
	v_mul_hi_u32 v7, v1, v7
	v_add_u32_e32 v1, v1, v7
	v_mul_hi_u32 v1, v3, v1
	v_mul_lo_u32 v7, v1, s16
	v_add_u32_e32 v8, 1, v1
	v_sub_u32_e32 v7, v3, v7
	v_subrev_u32_e32 v9, s16, v7
	v_cmp_le_u32_e32 vcc, s16, v7
	v_cndmask_b32_e32 v7, v7, v9, vcc
	v_cndmask_b32_e32 v1, v1, v8, vcc
	v_add_u32_e32 v8, 1, v1
	v_cmp_le_u32_e32 vcc, s16, v7
	v_cndmask_b32_e32 v7, v1, v8, vcc
	v_mov_b32_e32 v8, 0
.LBB0_24:
	s_or_b64 exec, exec, s[2:3]
	v_mul_lo_u32 v1, v6, s16
	v_mul_lo_u32 v12, v5, s17
	v_mad_u64_u32 v[9:10], s[2:3], v5, s16, 0
	v_add3_u32 v10, v10, v12, v1
	v_cmp_gt_i64_e32 vcc, v[9:10], v[3:4]
	v_mov_b32_e32 v1, s15
	v_add_co_u32_e64 v9, s[2:3], s14, v9
	v_addc_co_u32_e64 v10, s[2:3], v10, v1, s[2:3]
	v_cmp_ge_i64_e64 s[2:3], v[3:4], v[9:10]
	s_or_b64 s[2:3], vcc, s[2:3]
	v_cndmask_b32_e64 v1, 0, 1, s[2:3]
	v_add_co_u32_e32 v9, vcc, v5, v1
	v_addc_co_u32_e32 v10, vcc, 0, v6, vcc
	v_cmp_gt_i64_e32 vcc, s[4:5], v[7:8]
	v_mov_b32_e32 v1, s5
	v_cndmask_b32_e32 v6, v1, v8, vcc
	v_mov_b32_e32 v1, s4
	v_cndmask_b32_e32 v5, v1, v7, vcc
	v_cmp_le_i64_e32 vcc, v[9:10], v[5:6]
	s_and_saveexec_b64 s[42:43], vcc
	s_cbranch_execz .LBB0_27
; %bb.25:
	global_load_ubyte v12, v2, s[8:9]
	v_mul_lo_u32 v14, s17, v9
	v_mul_lo_u32 v15, s16, v10
	v_mad_u64_u32 v[7:8], s[2:3], s16, v9, 0
	v_mov_b32_e32 v13, s9
	v_add_co_u32_e32 v1, vcc, s8, v2
	v_addc_co_u32_e32 v2, vcc, 0, v13, vcc
	v_add3_u32 v8, v8, v15, v14
	v_mul_lo_u32 v15, s21, v9
	v_mul_lo_u32 v16, s20, v10
	v_mad_u64_u32 v[13:14], s[2:3], s20, v9, 0
	v_sub_co_u32_e32 v3, vcc, v3, v7
	v_subb_co_u32_e32 v4, vcc, v4, v8, vcc
	v_add3_u32 v14, v14, v16, v15
	v_mad_u64_u32 v[7:8], s[2:3], s22, v3, v[13:14]
	v_mul_lo_u32 v13, s22, v4
	v_mul_lo_u32 v14, s23, v3
	v_add_co_u32_e32 v3, vcc, -1, v9
	v_addc_co_u32_e32 v4, vcc, -1, v10, vcc
	s_mul_i32 s2, s16, s23
	s_mul_hi_u32 s3, s16, s22
	v_add3_u32 v8, v14, v8, v13
	v_add_co_u32_e32 v0, vcc, v7, v0
	s_add_i32 s2, s3, s2
	s_mul_i32 s3, s17, s22
	v_addc_co_u32_e32 v8, vcc, 0, v8, vcc
	s_add_i32 s2, s2, s3
	s_mul_i32 s3, s16, s22
	v_mov_b32_e32 v9, s11
	v_add_co_u32_e32 v7, vcc, s10, v0
	s_sub_u32 s24, s20, s3
	v_addc_co_u32_e32 v8, vcc, v9, v8, vcc
	s_subb_u32 s46, s21, s2
	s_mov_b64 s[44:45], 0
.LBB0_26:                               ; =>This Inner Loop Header: Depth=1
	global_load_ubyte v0, v[7:8], off
	v_add_co_u32_e32 v3, vcc, 1, v3
	v_addc_co_u32_e32 v4, vcc, 0, v4, vcc
	v_cmp_ge_i64_e64 s[2:3], v[3:4], v[5:6]
	v_mov_b32_e32 v9, s46
	v_add_co_u32_e32 v7, vcc, s24, v7
	v_addc_co_u32_e32 v8, vcc, v8, v9, vcc
	s_or_b64 s[44:45], s[2:3], s[44:45]
	s_waitcnt vmcnt(0)
	v_add_u16_e32 v12, v0, v12
	global_store_byte v[1:2], v12, off
	s_andn2_b64 exec, exec, s[44:45]
	s_cbranch_execnz .LBB0_26
.LBB0_27:
	s_or_b64 exec, exec, s[42:43]
	v_add_u32_e32 v11, 0x100, v11
	s_or_b64 exec, exec, s[18:19]
	v_cmp_gt_i32_e32 vcc, s51, v11
	s_and_saveexec_b64 s[18:19], vcc
	s_cbranch_execz .LBB0_2
.LBB0_28:
	s_and_b64 vcc, exec, s[0:1]
	s_cbranch_vccnz .LBB0_35
; %bb.29:
	v_mov_b32_e32 v2, 0
	s_andn2_b64 vcc, exec, s[40:41]
	v_mov_b32_e32 v0, 0
	v_mov_b32_e32 v4, 0
	s_cbranch_vccnz .LBB0_34
; %bb.30:
	s_add_i32 s2, s31, 1
	s_and_b32 s24, s2, 30
	s_add_u32 s2, s33, 0xffffffe8
	s_addc_u32 s3, s50, -1
	v_mov_b32_e32 v4, 0
	v_mov_b32_e32 v0, 0
	;; [unrolled: 1-line block ×4, first 2 shown]
.LBB0_31:                               ; =>This Inner Loop Header: Depth=1
	s_load_dwordx4 s[44:47], s[2:3], 0x1c
	s_load_dwordx2 s[42:43], s[2:3], 0x2c
	s_load_dwordx2 s[48:49], s[2:3], 0xec
	s_load_dwordx4 s[52:55], s[2:3], 0xdc
	s_add_u32 s2, s2, 24
	s_waitcnt lgkmcnt(0)
	v_mul_hi_u32 v3, s45, v1
	s_addc_u32 s3, s3, 0
	s_add_i32 s24, s24, -2
	s_cmp_eq_u32 s24, 0
	v_add_u32_e32 v3, v1, v3
	v_lshrrev_b32_e32 v3, s46, v3
	v_mul_lo_u32 v5, v3, s44
	v_mul_hi_u32 v6, s42, v3
	v_sub_u32_e32 v5, v1, v5
	v_add_u32_e32 v1, v3, v6
	v_lshrrev_b32_e32 v1, s43, v1
	v_mul_lo_u32 v8, v1, s47
	v_mul_lo_u32 v6, v5, s52
	;; [unrolled: 1-line block ×4, first 2 shown]
	v_sub_u32_e32 v3, v3, v8
	v_mul_lo_u32 v8, v3, s55
	v_mul_lo_u32 v9, v3, s48
	;; [unrolled: 1-line block ×3, first 2 shown]
	v_add3_u32 v2, v6, v2, v8
	v_add3_u32 v0, v7, v0, v9
	;; [unrolled: 1-line block ×3, first 2 shown]
	s_cbranch_scc0 .LBB0_31
; %bb.32:
	s_bitcmp1_b32 s31, 0
	s_cselect_b64 s[42:43], -1, 0
	s_and_b64 vcc, exec, s[42:43]
	s_cbranch_vccnz .LBB0_34
; %bb.33:
	s_load_dwordx2 s[42:43], s[2:3], 0x1c
	s_load_dword s24, s[2:3], 0x24
	s_load_dwordx2 s[44:45], s[2:3], 0xdc
	s_waitcnt lgkmcnt(0)
	v_mul_hi_u32 v3, s43, v1
	v_add_u32_e32 v3, v1, v3
	v_lshrrev_b32_e32 v3, s24, v3
	v_mul_lo_u32 v3, v3, s42
	s_load_dword s24, s[2:3], 0xe4
	v_sub_u32_e32 v5, v1, v3
	v_mad_u64_u32 v[2:3], s[2:3], v5, s44, v[2:3]
	v_mad_u64_u32 v[0:1], s[2:3], v5, s45, v[0:1]
	s_waitcnt lgkmcnt(0)
	v_mad_u64_u32 v[4:5], s[2:3], v5, s24, v[4:5]
.LBB0_34:
	s_cbranch_execz .LBB0_36
	s_branch .LBB0_38
.LBB0_35:
                                        ; implicit-def: $vgpr2
                                        ; implicit-def: $vgpr0
                                        ; implicit-def: $vgpr4
.LBB0_36:
	v_mul_hi_u32 v0, s26, v11
	s_andn2_b64 vcc, exec, s[34:35]
	v_add_u32_e32 v0, v11, v0
	v_lshrrev_b32_e32 v1, s27, v0
	v_mul_lo_u32 v0, v1, s25
	v_sub_u32_e32 v3, v11, v0
	v_mul_lo_u32 v2, v3, s36
	v_mul_lo_u32 v0, v3, s37
	v_mul_lo_u32 v4, v3, s38
	s_cbranch_vccnz .LBB0_38
; %bb.37:
	v_mul_hi_u32 v3, s29, v1
	v_add_u32_e32 v3, v1, v3
	v_lshrrev_b32_e32 v3, s30, v3
	v_mul_lo_u32 v3, v3, s28
	v_sub_u32_e32 v5, v1, v3
	v_mad_u64_u32 v[2:3], s[2:3], v5, s39, v[2:3]
	v_mad_u64_u32 v[0:1], s[2:3], v5, s6, v[0:1]
	;; [unrolled: 1-line block ×3, first 2 shown]
.LBB0_38:
	global_load_dwordx2 v[3:4], v4, s[12:13]
	v_mov_b32_e32 v5, 0
	v_mov_b32_e32 v6, 0
	s_waitcnt vmcnt(0)
	v_cmp_lt_i64_e32 vcc, s[14:15], v[3:4]
	s_and_saveexec_b64 s[42:43], vcc
	s_cbranch_execz .LBB0_44
; %bb.39:
	v_mov_b32_e32 v5, s15
	v_subrev_co_u32_e32 v1, vcc, s14, v3
	v_subb_co_u32_e32 v7, vcc, v4, v5, vcc
	v_or_b32_e32 v6, s17, v7
	v_mov_b32_e32 v5, 0
	v_cmp_ne_u64_e32 vcc, 0, v[5:6]
                                        ; implicit-def: $vgpr5_vgpr6
	s_and_saveexec_b64 s[2:3], vcc
	s_xor_b64 s[44:45], exec, s[2:3]
	s_cbranch_execz .LBB0_41
; %bb.40:
	s_ashr_i32 s46, s17, 31
	s_add_u32 s2, s16, s46
	s_mov_b32 s47, s46
	s_addc_u32 s3, s17, s46
	s_xor_b64 s[48:49], s[2:3], s[46:47]
	v_cvt_f32_u32_e32 v5, s48
	v_cvt_f32_u32_e32 v6, s49
	s_sub_u32 s24, 0, s48
	s_subb_u32 s47, 0, s49
	v_ashrrev_i32_e32 v9, 31, v7
	v_madmk_f32 v5, v6, 0x4f800000, v5
	v_rcp_f32_e32 v5, v5
	v_add_co_u32_e32 v1, vcc, v1, v9
	v_xor_b32_e32 v1, v1, v9
	v_mul_f32_e32 v5, 0x5f7ffffc, v5
	v_mul_f32_e32 v6, 0x2f800000, v5
	v_trunc_f32_e32 v6, v6
	v_madmk_f32 v5, v6, 0xcf800000, v5
	v_cvt_u32_f32_e32 v6, v6
	v_cvt_u32_f32_e32 v5, v5
	v_addc_co_u32_e32 v7, vcc, v7, v9, vcc
	v_readfirstlane_b32 s52, v6
	v_readfirstlane_b32 s2, v5
	s_mul_i32 s3, s24, s52
	s_mul_hi_u32 s54, s24, s2
	s_mul_i32 s53, s47, s2
	s_add_i32 s3, s54, s3
	s_add_i32 s3, s3, s53
	s_mul_i32 s55, s24, s2
	s_mul_i32 s54, s2, s3
	s_mul_hi_u32 s56, s2, s55
	s_mul_hi_u32 s53, s2, s3
	s_add_u32 s54, s56, s54
	s_addc_u32 s53, 0, s53
	s_mul_hi_u32 s57, s52, s55
	s_mul_i32 s55, s52, s55
	s_add_u32 s54, s54, s55
	s_mul_hi_u32 s56, s52, s3
	s_addc_u32 s53, s53, s57
	s_addc_u32 s54, s56, 0
	s_mul_i32 s3, s52, s3
	s_add_u32 s3, s53, s3
	s_addc_u32 s53, 0, s54
	s_add_u32 s54, s2, s3
	s_cselect_b64 s[2:3], -1, 0
	s_cmp_lg_u64 s[2:3], 0
	s_addc_u32 s52, s52, s53
	s_mul_i32 s2, s24, s52
	s_mul_hi_u32 s3, s24, s54
	s_add_i32 s2, s3, s2
	s_mul_i32 s47, s47, s54
	s_add_i32 s2, s2, s47
	s_mul_i32 s24, s24, s54
	s_mul_hi_u32 s47, s52, s24
	s_mul_i32 s53, s52, s24
	s_mul_i32 s56, s54, s2
	s_mul_hi_u32 s24, s54, s24
	s_mul_hi_u32 s55, s54, s2
	s_add_u32 s24, s24, s56
	s_addc_u32 s55, 0, s55
	s_add_u32 s24, s24, s53
	s_mul_hi_u32 s3, s52, s2
	s_addc_u32 s24, s55, s47
	s_addc_u32 s3, s3, 0
	s_mul_i32 s2, s52, s2
	s_add_u32 s2, s24, s2
	s_addc_u32 s24, 0, s3
	s_add_u32 s47, s54, s2
	s_cselect_b64 s[2:3], -1, 0
	s_cmp_lg_u64 s[2:3], 0
	s_addc_u32 s24, s52, s24
	v_mad_u64_u32 v[5:6], s[2:3], v1, s24, 0
	v_mul_hi_u32 v8, v1, s47
	v_xor_b32_e32 v10, v7, v9
	v_add_co_u32_e32 v12, vcc, v8, v5
	v_addc_co_u32_e32 v13, vcc, 0, v6, vcc
	v_mad_u64_u32 v[5:6], s[2:3], v10, s47, 0
	v_mad_u64_u32 v[7:8], s[2:3], v10, s24, 0
	v_add_co_u32_e32 v5, vcc, v12, v5
	v_addc_co_u32_e32 v5, vcc, v13, v6, vcc
	v_addc_co_u32_e32 v6, vcc, 0, v8, vcc
	v_add_co_u32_e32 v7, vcc, v5, v7
	v_addc_co_u32_e32 v8, vcc, 0, v6, vcc
	v_mul_lo_u32 v12, s49, v7
	v_mul_lo_u32 v13, s48, v8
	v_mad_u64_u32 v[5:6], s[2:3], s48, v7, 0
	v_add3_u32 v6, v6, v13, v12
	v_sub_u32_e32 v12, v10, v6
	v_mov_b32_e32 v13, s49
	v_sub_co_u32_e32 v1, vcc, v1, v5
	v_subb_co_u32_e64 v5, s[2:3], v12, v13, vcc
	v_subrev_co_u32_e64 v12, s[2:3], s48, v1
	v_subbrev_co_u32_e64 v5, s[2:3], 0, v5, s[2:3]
	v_cmp_le_u32_e64 s[2:3], s49, v5
	v_cndmask_b32_e64 v13, 0, -1, s[2:3]
	v_cmp_le_u32_e64 s[2:3], s48, v12
	v_cndmask_b32_e64 v12, 0, -1, s[2:3]
	v_cmp_eq_u32_e64 s[2:3], s49, v5
	v_cndmask_b32_e64 v5, v13, v12, s[2:3]
	v_add_co_u32_e64 v12, s[2:3], 2, v7
	v_subb_co_u32_e32 v6, vcc, v10, v6, vcc
	v_addc_co_u32_e64 v13, s[2:3], 0, v8, s[2:3]
	v_cmp_le_u32_e32 vcc, s49, v6
	v_add_co_u32_e64 v14, s[2:3], 1, v7
	v_cndmask_b32_e64 v10, 0, -1, vcc
	v_cmp_le_u32_e32 vcc, s48, v1
	v_addc_co_u32_e64 v15, s[2:3], 0, v8, s[2:3]
	v_cndmask_b32_e64 v1, 0, -1, vcc
	v_cmp_eq_u32_e32 vcc, s49, v6
	v_cmp_ne_u32_e64 s[2:3], 0, v5
	v_cndmask_b32_e32 v1, v10, v1, vcc
	v_cndmask_b32_e64 v5, v15, v13, s[2:3]
	v_cmp_ne_u32_e32 vcc, 0, v1
	v_cndmask_b32_e32 v1, v8, v5, vcc
	v_cndmask_b32_e64 v5, v14, v12, s[2:3]
	v_cndmask_b32_e32 v5, v7, v5, vcc
	v_xor_b32_e32 v6, s46, v9
	v_xor_b32_e32 v5, v5, v6
	;; [unrolled: 1-line block ×3, first 2 shown]
	v_sub_co_u32_e32 v5, vcc, v5, v6
	v_subb_co_u32_e32 v6, vcc, v1, v6, vcc
                                        ; implicit-def: $vgpr1
.LBB0_41:
	s_andn2_saveexec_b64 s[2:3], s[44:45]
	s_cbranch_execz .LBB0_43
; %bb.42:
	v_cvt_f32_u32_e32 v5, s16
	s_sub_i32 s24, 0, s16
	v_rcp_iflag_f32_e32 v5, v5
	v_mul_f32_e32 v5, 0x4f7ffffe, v5
	v_cvt_u32_f32_e32 v5, v5
	v_mul_lo_u32 v6, s24, v5
	v_mul_hi_u32 v6, v5, v6
	v_add_u32_e32 v5, v5, v6
	v_mul_hi_u32 v5, v1, v5
	v_mul_lo_u32 v6, v5, s16
	v_add_u32_e32 v7, 1, v5
	v_sub_u32_e32 v1, v1, v6
	v_subrev_u32_e32 v6, s16, v1
	v_cmp_le_u32_e32 vcc, s16, v1
	v_cndmask_b32_e32 v1, v1, v6, vcc
	v_cndmask_b32_e32 v5, v5, v7, vcc
	v_add_u32_e32 v6, 1, v5
	v_cmp_le_u32_e32 vcc, s16, v1
	v_cndmask_b32_e32 v5, v5, v6, vcc
	v_mov_b32_e32 v6, 0
.LBB0_43:
	s_or_b64 exec, exec, s[2:3]
.LBB0_44:
	s_or_b64 exec, exec, s[42:43]
	v_or_b32_e32 v8, s17, v4
	v_mov_b32_e32 v7, 0
	v_cmp_ne_u64_e32 vcc, 0, v[7:8]
                                        ; implicit-def: $vgpr7_vgpr8
	s_and_saveexec_b64 s[2:3], vcc
	s_xor_b64 s[42:43], exec, s[2:3]
	s_cbranch_execz .LBB0_46
; %bb.45:
	s_ashr_i32 s44, s17, 31
	s_add_u32 s2, s16, s44
	s_mov_b32 s45, s44
	s_addc_u32 s3, s17, s44
	s_xor_b64 s[46:47], s[2:3], s[44:45]
	v_cvt_f32_u32_e32 v1, s46
	v_cvt_f32_u32_e32 v7, s47
	s_sub_u32 s24, 0, s46
	s_subb_u32 s45, 0, s47
	v_madmk_f32 v1, v7, 0x4f800000, v1
	v_rcp_f32_e32 v1, v1
	v_mul_f32_e32 v1, 0x5f7ffffc, v1
	v_mul_f32_e32 v7, 0x2f800000, v1
	v_trunc_f32_e32 v7, v7
	v_madmk_f32 v1, v7, 0xcf800000, v1
	v_cvt_u32_f32_e32 v7, v7
	v_cvt_u32_f32_e32 v1, v1
	v_readfirstlane_b32 s48, v7
	v_readfirstlane_b32 s2, v1
	s_mul_i32 s3, s24, s48
	s_mul_hi_u32 s52, s24, s2
	s_mul_i32 s49, s45, s2
	s_add_i32 s3, s52, s3
	s_add_i32 s3, s3, s49
	s_mul_i32 s53, s24, s2
	s_mul_i32 s52, s2, s3
	s_mul_hi_u32 s54, s2, s53
	s_mul_hi_u32 s49, s2, s3
	s_add_u32 s52, s54, s52
	s_addc_u32 s49, 0, s49
	s_mul_hi_u32 s55, s48, s53
	s_mul_i32 s53, s48, s53
	s_add_u32 s52, s52, s53
	s_mul_hi_u32 s54, s48, s3
	s_addc_u32 s49, s49, s55
	s_addc_u32 s52, s54, 0
	s_mul_i32 s3, s48, s3
	s_add_u32 s3, s49, s3
	s_addc_u32 s49, 0, s52
	s_add_u32 s52, s2, s3
	s_cselect_b64 s[2:3], -1, 0
	s_cmp_lg_u64 s[2:3], 0
	s_addc_u32 s48, s48, s49
	s_mul_i32 s2, s24, s48
	s_mul_hi_u32 s3, s24, s52
	s_add_i32 s2, s3, s2
	s_mul_i32 s45, s45, s52
	s_add_i32 s2, s2, s45
	s_mul_i32 s24, s24, s52
	s_mul_hi_u32 s45, s48, s24
	s_mul_i32 s49, s48, s24
	s_mul_i32 s54, s52, s2
	s_mul_hi_u32 s24, s52, s24
	s_mul_hi_u32 s53, s52, s2
	s_add_u32 s24, s24, s54
	s_addc_u32 s53, 0, s53
	s_add_u32 s24, s24, s49
	s_mul_hi_u32 s3, s48, s2
	s_addc_u32 s24, s53, s45
	s_addc_u32 s3, s3, 0
	s_mul_i32 s2, s48, s2
	s_add_u32 s2, s24, s2
	s_addc_u32 s24, 0, s3
	s_add_u32 s45, s52, s2
	s_cselect_b64 s[2:3], -1, 0
	v_ashrrev_i32_e32 v1, 31, v4
	s_cmp_lg_u64 s[2:3], 0
	v_add_co_u32_e32 v7, vcc, v3, v1
	s_addc_u32 s24, s48, s24
	v_xor_b32_e32 v12, v7, v1
	v_mad_u64_u32 v[7:8], s[2:3], v12, s24, 0
	v_mul_hi_u32 v10, v12, s45
	v_addc_co_u32_e32 v9, vcc, v4, v1, vcc
	v_xor_b32_e32 v13, v9, v1
	v_add_co_u32_e32 v14, vcc, v10, v7
	v_addc_co_u32_e32 v15, vcc, 0, v8, vcc
	v_mad_u64_u32 v[7:8], s[2:3], v13, s45, 0
	v_mad_u64_u32 v[9:10], s[2:3], v13, s24, 0
	v_add_co_u32_e32 v7, vcc, v14, v7
	v_addc_co_u32_e32 v7, vcc, v15, v8, vcc
	v_addc_co_u32_e32 v8, vcc, 0, v10, vcc
	v_add_co_u32_e32 v9, vcc, v7, v9
	v_addc_co_u32_e32 v10, vcc, 0, v8, vcc
	v_mul_lo_u32 v14, s47, v9
	v_mul_lo_u32 v15, s46, v10
	v_mad_u64_u32 v[7:8], s[2:3], s46, v9, 0
	v_xor_b32_e32 v1, s44, v1
	v_add3_u32 v8, v8, v15, v14
	v_sub_u32_e32 v14, v13, v8
	v_mov_b32_e32 v15, s47
	v_sub_co_u32_e32 v7, vcc, v12, v7
	v_subb_co_u32_e64 v12, s[2:3], v14, v15, vcc
	v_subrev_co_u32_e64 v14, s[2:3], s46, v7
	v_subbrev_co_u32_e64 v12, s[2:3], 0, v12, s[2:3]
	v_cmp_le_u32_e64 s[2:3], s47, v12
	v_cndmask_b32_e64 v15, 0, -1, s[2:3]
	v_cmp_le_u32_e64 s[2:3], s46, v14
	v_cndmask_b32_e64 v14, 0, -1, s[2:3]
	v_cmp_eq_u32_e64 s[2:3], s47, v12
	v_cndmask_b32_e64 v12, v15, v14, s[2:3]
	v_add_co_u32_e64 v14, s[2:3], 2, v9
	v_subb_co_u32_e32 v8, vcc, v13, v8, vcc
	v_addc_co_u32_e64 v15, s[2:3], 0, v10, s[2:3]
	v_cmp_le_u32_e32 vcc, s47, v8
	v_add_co_u32_e64 v16, s[2:3], 1, v9
	v_cndmask_b32_e64 v13, 0, -1, vcc
	v_cmp_le_u32_e32 vcc, s46, v7
	v_addc_co_u32_e64 v17, s[2:3], 0, v10, s[2:3]
	v_cndmask_b32_e64 v7, 0, -1, vcc
	v_cmp_eq_u32_e32 vcc, s47, v8
	v_cmp_ne_u32_e64 s[2:3], 0, v12
	v_cndmask_b32_e32 v7, v13, v7, vcc
	v_cndmask_b32_e64 v12, v17, v15, s[2:3]
	v_cmp_ne_u32_e32 vcc, 0, v7
	v_cndmask_b32_e64 v8, v16, v14, s[2:3]
	v_cndmask_b32_e32 v7, v10, v12, vcc
	v_cndmask_b32_e32 v8, v9, v8, vcc
	v_xor_b32_e32 v9, v7, v1
	v_xor_b32_e32 v7, v8, v1
	v_sub_co_u32_e32 v7, vcc, v7, v1
	v_subb_co_u32_e32 v8, vcc, v9, v1, vcc
.LBB0_46:
	s_andn2_saveexec_b64 s[2:3], s[42:43]
	s_cbranch_execz .LBB0_48
; %bb.47:
	v_cvt_f32_u32_e32 v1, s16
	s_sub_i32 s24, 0, s16
	v_rcp_iflag_f32_e32 v1, v1
	v_mul_f32_e32 v1, 0x4f7ffffe, v1
	v_cvt_u32_f32_e32 v1, v1
	v_mul_lo_u32 v7, s24, v1
	v_mul_hi_u32 v7, v1, v7
	v_add_u32_e32 v1, v1, v7
	v_mul_hi_u32 v1, v3, v1
	v_mul_lo_u32 v7, v1, s16
	v_add_u32_e32 v8, 1, v1
	v_sub_u32_e32 v7, v3, v7
	v_subrev_u32_e32 v9, s16, v7
	v_cmp_le_u32_e32 vcc, s16, v7
	v_cndmask_b32_e32 v7, v7, v9, vcc
	v_cndmask_b32_e32 v1, v1, v8, vcc
	v_add_u32_e32 v8, 1, v1
	v_cmp_le_u32_e32 vcc, s16, v7
	v_cndmask_b32_e32 v7, v1, v8, vcc
	v_mov_b32_e32 v8, 0
.LBB0_48:
	s_or_b64 exec, exec, s[2:3]
	v_mul_lo_u32 v1, v6, s16
	v_mul_lo_u32 v12, v5, s17
	v_mad_u64_u32 v[9:10], s[2:3], v5, s16, 0
	v_add3_u32 v10, v10, v12, v1
	v_cmp_gt_i64_e32 vcc, v[9:10], v[3:4]
	v_mov_b32_e32 v1, s15
	v_add_co_u32_e64 v9, s[2:3], s14, v9
	v_addc_co_u32_e64 v10, s[2:3], v10, v1, s[2:3]
	v_cmp_ge_i64_e64 s[2:3], v[3:4], v[9:10]
	s_or_b64 s[2:3], vcc, s[2:3]
	v_cndmask_b32_e64 v1, 0, 1, s[2:3]
	v_add_co_u32_e32 v9, vcc, v5, v1
	v_addc_co_u32_e32 v10, vcc, 0, v6, vcc
	v_cmp_gt_i64_e32 vcc, s[4:5], v[7:8]
	v_mov_b32_e32 v1, s5
	v_cndmask_b32_e32 v6, v1, v8, vcc
	v_mov_b32_e32 v1, s4
	v_cndmask_b32_e32 v5, v1, v7, vcc
	v_cmp_le_i64_e32 vcc, v[9:10], v[5:6]
	s_and_saveexec_b64 s[42:43], vcc
	s_cbranch_execz .LBB0_51
; %bb.49:
	global_load_ubyte v12, v2, s[8:9]
	v_mul_lo_u32 v14, s17, v9
	v_mul_lo_u32 v15, s16, v10
	v_mad_u64_u32 v[7:8], s[2:3], s16, v9, 0
	v_mov_b32_e32 v13, s9
	v_add_co_u32_e32 v1, vcc, s8, v2
	v_addc_co_u32_e32 v2, vcc, 0, v13, vcc
	v_add3_u32 v8, v8, v15, v14
	v_mul_lo_u32 v15, s21, v9
	v_mul_lo_u32 v16, s20, v10
	v_mad_u64_u32 v[13:14], s[2:3], s20, v9, 0
	v_sub_co_u32_e32 v3, vcc, v3, v7
	v_subb_co_u32_e32 v4, vcc, v4, v8, vcc
	v_add3_u32 v14, v14, v16, v15
	v_mad_u64_u32 v[7:8], s[2:3], s22, v3, v[13:14]
	v_mul_lo_u32 v13, s22, v4
	v_mul_lo_u32 v14, s23, v3
	v_add_co_u32_e32 v3, vcc, -1, v9
	v_addc_co_u32_e32 v4, vcc, -1, v10, vcc
	s_mul_i32 s2, s16, s23
	s_mul_hi_u32 s3, s16, s22
	v_add3_u32 v8, v14, v8, v13
	v_add_co_u32_e32 v0, vcc, v7, v0
	s_add_i32 s2, s3, s2
	s_mul_i32 s3, s17, s22
	v_addc_co_u32_e32 v8, vcc, 0, v8, vcc
	s_add_i32 s2, s2, s3
	s_mul_i32 s3, s16, s22
	v_mov_b32_e32 v9, s11
	v_add_co_u32_e32 v7, vcc, s10, v0
	s_sub_u32 s24, s20, s3
	v_addc_co_u32_e32 v8, vcc, v9, v8, vcc
	s_subb_u32 s46, s21, s2
	s_mov_b64 s[44:45], 0
.LBB0_50:                               ; =>This Inner Loop Header: Depth=1
	global_load_ubyte v0, v[7:8], off
	v_add_co_u32_e32 v3, vcc, 1, v3
	v_addc_co_u32_e32 v4, vcc, 0, v4, vcc
	v_cmp_ge_i64_e64 s[2:3], v[3:4], v[5:6]
	v_mov_b32_e32 v9, s46
	v_add_co_u32_e32 v7, vcc, s24, v7
	v_addc_co_u32_e32 v8, vcc, v8, v9, vcc
	s_or_b64 s[44:45], s[2:3], s[44:45]
	s_waitcnt vmcnt(0)
	v_add_u16_e32 v12, v0, v12
	global_store_byte v[1:2], v12, off
	s_andn2_b64 exec, exec, s[44:45]
	s_cbranch_execnz .LBB0_50
.LBB0_51:
	s_or_b64 exec, exec, s[42:43]
	v_add_u32_e32 v11, 0x100, v11
	s_or_b64 exec, exec, s[18:19]
	v_cmp_gt_i32_e32 vcc, s51, v11
	s_and_saveexec_b64 s[18:19], vcc
	s_cbranch_execz .LBB0_3
.LBB0_52:
	s_and_b64 vcc, exec, s[0:1]
	s_cbranch_vccnz .LBB0_59
; %bb.53:
	v_mov_b32_e32 v2, 0
	s_andn2_b64 vcc, exec, s[40:41]
	v_mov_b32_e32 v0, 0
	v_mov_b32_e32 v4, 0
	s_cbranch_vccnz .LBB0_58
; %bb.54:
	s_add_i32 s2, s31, 1
	s_and_b32 s24, s2, 30
	s_add_u32 s2, s33, 0xffffffe8
	s_addc_u32 s3, s50, -1
	v_mov_b32_e32 v4, 0
	v_mov_b32_e32 v0, 0
	;; [unrolled: 1-line block ×4, first 2 shown]
.LBB0_55:                               ; =>This Inner Loop Header: Depth=1
	s_load_dwordx4 s[44:47], s[2:3], 0x1c
	s_load_dwordx2 s[42:43], s[2:3], 0x2c
	s_load_dwordx2 s[48:49], s[2:3], 0xec
	s_load_dwordx4 s[52:55], s[2:3], 0xdc
	s_add_u32 s2, s2, 24
	s_waitcnt lgkmcnt(0)
	v_mul_hi_u32 v3, s45, v1
	s_addc_u32 s3, s3, 0
	s_add_i32 s24, s24, -2
	s_cmp_eq_u32 s24, 0
	v_add_u32_e32 v3, v1, v3
	v_lshrrev_b32_e32 v3, s46, v3
	v_mul_lo_u32 v5, v3, s44
	v_mul_hi_u32 v6, s42, v3
	v_sub_u32_e32 v5, v1, v5
	v_add_u32_e32 v1, v3, v6
	v_lshrrev_b32_e32 v1, s43, v1
	v_mul_lo_u32 v8, v1, s47
	v_mul_lo_u32 v6, v5, s52
	;; [unrolled: 1-line block ×4, first 2 shown]
	v_sub_u32_e32 v3, v3, v8
	v_mul_lo_u32 v8, v3, s55
	v_mul_lo_u32 v9, v3, s48
	;; [unrolled: 1-line block ×3, first 2 shown]
	v_add3_u32 v2, v6, v2, v8
	v_add3_u32 v0, v7, v0, v9
	;; [unrolled: 1-line block ×3, first 2 shown]
	s_cbranch_scc0 .LBB0_55
; %bb.56:
	s_bitcmp1_b32 s31, 0
	s_cselect_b64 s[42:43], -1, 0
	s_and_b64 vcc, exec, s[42:43]
	s_cbranch_vccnz .LBB0_58
; %bb.57:
	s_load_dwordx2 s[42:43], s[2:3], 0x1c
	s_load_dword s24, s[2:3], 0x24
	s_load_dwordx2 s[44:45], s[2:3], 0xdc
	s_waitcnt lgkmcnt(0)
	v_mul_hi_u32 v3, s43, v1
	v_add_u32_e32 v3, v1, v3
	v_lshrrev_b32_e32 v3, s24, v3
	v_mul_lo_u32 v3, v3, s42
	s_load_dword s24, s[2:3], 0xe4
	v_sub_u32_e32 v5, v1, v3
	v_mad_u64_u32 v[2:3], s[2:3], v5, s44, v[2:3]
	v_mad_u64_u32 v[0:1], s[2:3], v5, s45, v[0:1]
	s_waitcnt lgkmcnt(0)
	v_mad_u64_u32 v[4:5], s[2:3], v5, s24, v[4:5]
.LBB0_58:
	s_cbranch_execz .LBB0_60
	s_branch .LBB0_62
.LBB0_59:
                                        ; implicit-def: $vgpr2
                                        ; implicit-def: $vgpr0
                                        ; implicit-def: $vgpr4
.LBB0_60:
	v_mul_hi_u32 v0, s26, v11
	s_andn2_b64 vcc, exec, s[34:35]
	v_add_u32_e32 v0, v11, v0
	v_lshrrev_b32_e32 v1, s27, v0
	v_mul_lo_u32 v0, v1, s25
	v_sub_u32_e32 v3, v11, v0
	v_mul_lo_u32 v2, v3, s36
	v_mul_lo_u32 v0, v3, s37
	;; [unrolled: 1-line block ×3, first 2 shown]
	s_cbranch_vccnz .LBB0_62
; %bb.61:
	v_mul_hi_u32 v3, s29, v1
	v_add_u32_e32 v3, v1, v3
	v_lshrrev_b32_e32 v3, s30, v3
	v_mul_lo_u32 v3, v3, s28
	v_sub_u32_e32 v5, v1, v3
	v_mad_u64_u32 v[2:3], s[2:3], v5, s39, v[2:3]
	v_mad_u64_u32 v[0:1], s[2:3], v5, s6, v[0:1]
	;; [unrolled: 1-line block ×3, first 2 shown]
.LBB0_62:
	global_load_dwordx2 v[3:4], v4, s[12:13]
	v_mov_b32_e32 v5, 0
	v_mov_b32_e32 v6, 0
	s_waitcnt vmcnt(0)
	v_cmp_lt_i64_e32 vcc, s[14:15], v[3:4]
	s_and_saveexec_b64 s[42:43], vcc
	s_cbranch_execz .LBB0_68
; %bb.63:
	v_mov_b32_e32 v5, s15
	v_subrev_co_u32_e32 v1, vcc, s14, v3
	v_subb_co_u32_e32 v7, vcc, v4, v5, vcc
	v_or_b32_e32 v6, s17, v7
	v_mov_b32_e32 v5, 0
	v_cmp_ne_u64_e32 vcc, 0, v[5:6]
                                        ; implicit-def: $vgpr5_vgpr6
	s_and_saveexec_b64 s[2:3], vcc
	s_xor_b64 s[44:45], exec, s[2:3]
	s_cbranch_execz .LBB0_65
; %bb.64:
	s_ashr_i32 s46, s17, 31
	s_add_u32 s2, s16, s46
	s_mov_b32 s47, s46
	s_addc_u32 s3, s17, s46
	s_xor_b64 s[48:49], s[2:3], s[46:47]
	v_cvt_f32_u32_e32 v5, s48
	v_cvt_f32_u32_e32 v6, s49
	s_sub_u32 s24, 0, s48
	s_subb_u32 s47, 0, s49
	v_ashrrev_i32_e32 v9, 31, v7
	v_madmk_f32 v5, v6, 0x4f800000, v5
	v_rcp_f32_e32 v5, v5
	v_add_co_u32_e32 v1, vcc, v1, v9
	v_xor_b32_e32 v1, v1, v9
	v_mul_f32_e32 v5, 0x5f7ffffc, v5
	v_mul_f32_e32 v6, 0x2f800000, v5
	v_trunc_f32_e32 v6, v6
	v_madmk_f32 v5, v6, 0xcf800000, v5
	v_cvt_u32_f32_e32 v6, v6
	v_cvt_u32_f32_e32 v5, v5
	v_addc_co_u32_e32 v7, vcc, v7, v9, vcc
	v_readfirstlane_b32 s52, v6
	v_readfirstlane_b32 s2, v5
	s_mul_i32 s3, s24, s52
	s_mul_hi_u32 s54, s24, s2
	s_mul_i32 s53, s47, s2
	s_add_i32 s3, s54, s3
	s_add_i32 s3, s3, s53
	s_mul_i32 s55, s24, s2
	s_mul_i32 s54, s2, s3
	s_mul_hi_u32 s56, s2, s55
	s_mul_hi_u32 s53, s2, s3
	s_add_u32 s54, s56, s54
	s_addc_u32 s53, 0, s53
	s_mul_hi_u32 s57, s52, s55
	s_mul_i32 s55, s52, s55
	s_add_u32 s54, s54, s55
	s_mul_hi_u32 s56, s52, s3
	s_addc_u32 s53, s53, s57
	s_addc_u32 s54, s56, 0
	s_mul_i32 s3, s52, s3
	s_add_u32 s3, s53, s3
	s_addc_u32 s53, 0, s54
	s_add_u32 s54, s2, s3
	s_cselect_b64 s[2:3], -1, 0
	s_cmp_lg_u64 s[2:3], 0
	s_addc_u32 s52, s52, s53
	s_mul_i32 s2, s24, s52
	s_mul_hi_u32 s3, s24, s54
	s_add_i32 s2, s3, s2
	s_mul_i32 s47, s47, s54
	s_add_i32 s2, s2, s47
	s_mul_i32 s24, s24, s54
	s_mul_hi_u32 s47, s52, s24
	s_mul_i32 s53, s52, s24
	s_mul_i32 s56, s54, s2
	s_mul_hi_u32 s24, s54, s24
	s_mul_hi_u32 s55, s54, s2
	s_add_u32 s24, s24, s56
	s_addc_u32 s55, 0, s55
	s_add_u32 s24, s24, s53
	s_mul_hi_u32 s3, s52, s2
	s_addc_u32 s24, s55, s47
	s_addc_u32 s3, s3, 0
	s_mul_i32 s2, s52, s2
	s_add_u32 s2, s24, s2
	s_addc_u32 s24, 0, s3
	s_add_u32 s47, s54, s2
	s_cselect_b64 s[2:3], -1, 0
	s_cmp_lg_u64 s[2:3], 0
	s_addc_u32 s24, s52, s24
	v_mad_u64_u32 v[5:6], s[2:3], v1, s24, 0
	v_mul_hi_u32 v8, v1, s47
	v_xor_b32_e32 v10, v7, v9
	v_add_co_u32_e32 v12, vcc, v8, v5
	v_addc_co_u32_e32 v13, vcc, 0, v6, vcc
	v_mad_u64_u32 v[5:6], s[2:3], v10, s47, 0
	v_mad_u64_u32 v[7:8], s[2:3], v10, s24, 0
	v_add_co_u32_e32 v5, vcc, v12, v5
	v_addc_co_u32_e32 v5, vcc, v13, v6, vcc
	v_addc_co_u32_e32 v6, vcc, 0, v8, vcc
	v_add_co_u32_e32 v7, vcc, v5, v7
	v_addc_co_u32_e32 v8, vcc, 0, v6, vcc
	v_mul_lo_u32 v12, s49, v7
	v_mul_lo_u32 v13, s48, v8
	v_mad_u64_u32 v[5:6], s[2:3], s48, v7, 0
	v_add3_u32 v6, v6, v13, v12
	v_sub_u32_e32 v12, v10, v6
	v_mov_b32_e32 v13, s49
	v_sub_co_u32_e32 v1, vcc, v1, v5
	v_subb_co_u32_e64 v5, s[2:3], v12, v13, vcc
	v_subrev_co_u32_e64 v12, s[2:3], s48, v1
	v_subbrev_co_u32_e64 v5, s[2:3], 0, v5, s[2:3]
	v_cmp_le_u32_e64 s[2:3], s49, v5
	v_cndmask_b32_e64 v13, 0, -1, s[2:3]
	v_cmp_le_u32_e64 s[2:3], s48, v12
	v_cndmask_b32_e64 v12, 0, -1, s[2:3]
	v_cmp_eq_u32_e64 s[2:3], s49, v5
	v_cndmask_b32_e64 v5, v13, v12, s[2:3]
	v_add_co_u32_e64 v12, s[2:3], 2, v7
	v_subb_co_u32_e32 v6, vcc, v10, v6, vcc
	v_addc_co_u32_e64 v13, s[2:3], 0, v8, s[2:3]
	v_cmp_le_u32_e32 vcc, s49, v6
	v_add_co_u32_e64 v14, s[2:3], 1, v7
	v_cndmask_b32_e64 v10, 0, -1, vcc
	v_cmp_le_u32_e32 vcc, s48, v1
	v_addc_co_u32_e64 v15, s[2:3], 0, v8, s[2:3]
	v_cndmask_b32_e64 v1, 0, -1, vcc
	v_cmp_eq_u32_e32 vcc, s49, v6
	v_cmp_ne_u32_e64 s[2:3], 0, v5
	v_cndmask_b32_e32 v1, v10, v1, vcc
	v_cndmask_b32_e64 v5, v15, v13, s[2:3]
	v_cmp_ne_u32_e32 vcc, 0, v1
	v_cndmask_b32_e32 v1, v8, v5, vcc
	v_cndmask_b32_e64 v5, v14, v12, s[2:3]
	v_cndmask_b32_e32 v5, v7, v5, vcc
	v_xor_b32_e32 v6, s46, v9
	v_xor_b32_e32 v5, v5, v6
	;; [unrolled: 1-line block ×3, first 2 shown]
	v_sub_co_u32_e32 v5, vcc, v5, v6
	v_subb_co_u32_e32 v6, vcc, v1, v6, vcc
                                        ; implicit-def: $vgpr1
.LBB0_65:
	s_andn2_saveexec_b64 s[2:3], s[44:45]
	s_cbranch_execz .LBB0_67
; %bb.66:
	v_cvt_f32_u32_e32 v5, s16
	s_sub_i32 s24, 0, s16
	v_rcp_iflag_f32_e32 v5, v5
	v_mul_f32_e32 v5, 0x4f7ffffe, v5
	v_cvt_u32_f32_e32 v5, v5
	v_mul_lo_u32 v6, s24, v5
	v_mul_hi_u32 v6, v5, v6
	v_add_u32_e32 v5, v5, v6
	v_mul_hi_u32 v5, v1, v5
	v_mul_lo_u32 v6, v5, s16
	v_add_u32_e32 v7, 1, v5
	v_sub_u32_e32 v1, v1, v6
	v_subrev_u32_e32 v6, s16, v1
	v_cmp_le_u32_e32 vcc, s16, v1
	v_cndmask_b32_e32 v1, v1, v6, vcc
	v_cndmask_b32_e32 v5, v5, v7, vcc
	v_add_u32_e32 v6, 1, v5
	v_cmp_le_u32_e32 vcc, s16, v1
	v_cndmask_b32_e32 v5, v5, v6, vcc
	v_mov_b32_e32 v6, 0
.LBB0_67:
	s_or_b64 exec, exec, s[2:3]
.LBB0_68:
	s_or_b64 exec, exec, s[42:43]
	v_or_b32_e32 v8, s17, v4
	v_mov_b32_e32 v7, 0
	v_cmp_ne_u64_e32 vcc, 0, v[7:8]
                                        ; implicit-def: $vgpr7_vgpr8
	s_and_saveexec_b64 s[2:3], vcc
	s_xor_b64 s[42:43], exec, s[2:3]
	s_cbranch_execz .LBB0_70
; %bb.69:
	s_ashr_i32 s44, s17, 31
	s_add_u32 s2, s16, s44
	s_mov_b32 s45, s44
	s_addc_u32 s3, s17, s44
	s_xor_b64 s[46:47], s[2:3], s[44:45]
	v_cvt_f32_u32_e32 v1, s46
	v_cvt_f32_u32_e32 v7, s47
	s_sub_u32 s24, 0, s46
	s_subb_u32 s45, 0, s47
	v_madmk_f32 v1, v7, 0x4f800000, v1
	v_rcp_f32_e32 v1, v1
	v_mul_f32_e32 v1, 0x5f7ffffc, v1
	v_mul_f32_e32 v7, 0x2f800000, v1
	v_trunc_f32_e32 v7, v7
	v_madmk_f32 v1, v7, 0xcf800000, v1
	v_cvt_u32_f32_e32 v7, v7
	v_cvt_u32_f32_e32 v1, v1
	v_readfirstlane_b32 s48, v7
	v_readfirstlane_b32 s2, v1
	s_mul_i32 s3, s24, s48
	s_mul_hi_u32 s52, s24, s2
	s_mul_i32 s49, s45, s2
	s_add_i32 s3, s52, s3
	s_add_i32 s3, s3, s49
	s_mul_i32 s53, s24, s2
	s_mul_i32 s52, s2, s3
	s_mul_hi_u32 s54, s2, s53
	s_mul_hi_u32 s49, s2, s3
	s_add_u32 s52, s54, s52
	s_addc_u32 s49, 0, s49
	s_mul_hi_u32 s55, s48, s53
	s_mul_i32 s53, s48, s53
	s_add_u32 s52, s52, s53
	s_mul_hi_u32 s54, s48, s3
	s_addc_u32 s49, s49, s55
	s_addc_u32 s52, s54, 0
	s_mul_i32 s3, s48, s3
	s_add_u32 s3, s49, s3
	s_addc_u32 s49, 0, s52
	s_add_u32 s52, s2, s3
	s_cselect_b64 s[2:3], -1, 0
	s_cmp_lg_u64 s[2:3], 0
	s_addc_u32 s48, s48, s49
	s_mul_i32 s2, s24, s48
	s_mul_hi_u32 s3, s24, s52
	s_add_i32 s2, s3, s2
	s_mul_i32 s45, s45, s52
	s_add_i32 s2, s2, s45
	s_mul_i32 s24, s24, s52
	s_mul_hi_u32 s45, s48, s24
	s_mul_i32 s49, s48, s24
	s_mul_i32 s54, s52, s2
	s_mul_hi_u32 s24, s52, s24
	s_mul_hi_u32 s53, s52, s2
	s_add_u32 s24, s24, s54
	s_addc_u32 s53, 0, s53
	s_add_u32 s24, s24, s49
	s_mul_hi_u32 s3, s48, s2
	s_addc_u32 s24, s53, s45
	s_addc_u32 s3, s3, 0
	s_mul_i32 s2, s48, s2
	s_add_u32 s2, s24, s2
	s_addc_u32 s24, 0, s3
	s_add_u32 s45, s52, s2
	s_cselect_b64 s[2:3], -1, 0
	v_ashrrev_i32_e32 v1, 31, v4
	s_cmp_lg_u64 s[2:3], 0
	v_add_co_u32_e32 v7, vcc, v3, v1
	s_addc_u32 s24, s48, s24
	v_xor_b32_e32 v12, v7, v1
	v_mad_u64_u32 v[7:8], s[2:3], v12, s24, 0
	v_mul_hi_u32 v10, v12, s45
	v_addc_co_u32_e32 v9, vcc, v4, v1, vcc
	v_xor_b32_e32 v13, v9, v1
	v_add_co_u32_e32 v14, vcc, v10, v7
	v_addc_co_u32_e32 v15, vcc, 0, v8, vcc
	v_mad_u64_u32 v[7:8], s[2:3], v13, s45, 0
	v_mad_u64_u32 v[9:10], s[2:3], v13, s24, 0
	v_add_co_u32_e32 v7, vcc, v14, v7
	v_addc_co_u32_e32 v7, vcc, v15, v8, vcc
	v_addc_co_u32_e32 v8, vcc, 0, v10, vcc
	v_add_co_u32_e32 v9, vcc, v7, v9
	v_addc_co_u32_e32 v10, vcc, 0, v8, vcc
	v_mul_lo_u32 v14, s47, v9
	v_mul_lo_u32 v15, s46, v10
	v_mad_u64_u32 v[7:8], s[2:3], s46, v9, 0
	v_xor_b32_e32 v1, s44, v1
	v_add3_u32 v8, v8, v15, v14
	v_sub_u32_e32 v14, v13, v8
	v_mov_b32_e32 v15, s47
	v_sub_co_u32_e32 v7, vcc, v12, v7
	v_subb_co_u32_e64 v12, s[2:3], v14, v15, vcc
	v_subrev_co_u32_e64 v14, s[2:3], s46, v7
	v_subbrev_co_u32_e64 v12, s[2:3], 0, v12, s[2:3]
	v_cmp_le_u32_e64 s[2:3], s47, v12
	v_cndmask_b32_e64 v15, 0, -1, s[2:3]
	v_cmp_le_u32_e64 s[2:3], s46, v14
	v_cndmask_b32_e64 v14, 0, -1, s[2:3]
	v_cmp_eq_u32_e64 s[2:3], s47, v12
	v_cndmask_b32_e64 v12, v15, v14, s[2:3]
	v_add_co_u32_e64 v14, s[2:3], 2, v9
	v_subb_co_u32_e32 v8, vcc, v13, v8, vcc
	v_addc_co_u32_e64 v15, s[2:3], 0, v10, s[2:3]
	v_cmp_le_u32_e32 vcc, s47, v8
	v_add_co_u32_e64 v16, s[2:3], 1, v9
	v_cndmask_b32_e64 v13, 0, -1, vcc
	v_cmp_le_u32_e32 vcc, s46, v7
	v_addc_co_u32_e64 v17, s[2:3], 0, v10, s[2:3]
	v_cndmask_b32_e64 v7, 0, -1, vcc
	v_cmp_eq_u32_e32 vcc, s47, v8
	v_cmp_ne_u32_e64 s[2:3], 0, v12
	v_cndmask_b32_e32 v7, v13, v7, vcc
	v_cndmask_b32_e64 v12, v17, v15, s[2:3]
	v_cmp_ne_u32_e32 vcc, 0, v7
	v_cndmask_b32_e64 v8, v16, v14, s[2:3]
	v_cndmask_b32_e32 v7, v10, v12, vcc
	v_cndmask_b32_e32 v8, v9, v8, vcc
	v_xor_b32_e32 v9, v7, v1
	v_xor_b32_e32 v7, v8, v1
	v_sub_co_u32_e32 v7, vcc, v7, v1
	v_subb_co_u32_e32 v8, vcc, v9, v1, vcc
.LBB0_70:
	s_andn2_saveexec_b64 s[2:3], s[42:43]
	s_cbranch_execz .LBB0_72
; %bb.71:
	v_cvt_f32_u32_e32 v1, s16
	s_sub_i32 s24, 0, s16
	v_rcp_iflag_f32_e32 v1, v1
	v_mul_f32_e32 v1, 0x4f7ffffe, v1
	v_cvt_u32_f32_e32 v1, v1
	v_mul_lo_u32 v7, s24, v1
	v_mul_hi_u32 v7, v1, v7
	v_add_u32_e32 v1, v1, v7
	v_mul_hi_u32 v1, v3, v1
	v_mul_lo_u32 v7, v1, s16
	v_add_u32_e32 v8, 1, v1
	v_sub_u32_e32 v7, v3, v7
	v_subrev_u32_e32 v9, s16, v7
	v_cmp_le_u32_e32 vcc, s16, v7
	v_cndmask_b32_e32 v7, v7, v9, vcc
	v_cndmask_b32_e32 v1, v1, v8, vcc
	v_add_u32_e32 v8, 1, v1
	v_cmp_le_u32_e32 vcc, s16, v7
	v_cndmask_b32_e32 v7, v1, v8, vcc
	v_mov_b32_e32 v8, 0
.LBB0_72:
	s_or_b64 exec, exec, s[2:3]
	v_mul_lo_u32 v1, v6, s16
	v_mul_lo_u32 v12, v5, s17
	v_mad_u64_u32 v[9:10], s[2:3], v5, s16, 0
	v_add3_u32 v10, v10, v12, v1
	v_cmp_gt_i64_e32 vcc, v[9:10], v[3:4]
	v_mov_b32_e32 v1, s15
	v_add_co_u32_e64 v9, s[2:3], s14, v9
	v_addc_co_u32_e64 v10, s[2:3], v10, v1, s[2:3]
	v_cmp_ge_i64_e64 s[2:3], v[3:4], v[9:10]
	s_or_b64 s[2:3], vcc, s[2:3]
	v_cndmask_b32_e64 v1, 0, 1, s[2:3]
	v_add_co_u32_e32 v9, vcc, v5, v1
	v_addc_co_u32_e32 v10, vcc, 0, v6, vcc
	v_cmp_gt_i64_e32 vcc, s[4:5], v[7:8]
	v_mov_b32_e32 v1, s5
	v_cndmask_b32_e32 v6, v1, v8, vcc
	v_mov_b32_e32 v1, s4
	v_cndmask_b32_e32 v5, v1, v7, vcc
	v_cmp_le_i64_e32 vcc, v[9:10], v[5:6]
	s_and_saveexec_b64 s[42:43], vcc
	s_cbranch_execz .LBB0_75
; %bb.73:
	global_load_ubyte v12, v2, s[8:9]
	v_mul_lo_u32 v14, s17, v9
	v_mul_lo_u32 v15, s16, v10
	v_mad_u64_u32 v[7:8], s[2:3], s16, v9, 0
	v_mov_b32_e32 v13, s9
	v_add_co_u32_e32 v1, vcc, s8, v2
	v_addc_co_u32_e32 v2, vcc, 0, v13, vcc
	v_add3_u32 v8, v8, v15, v14
	v_mul_lo_u32 v15, s21, v9
	v_mul_lo_u32 v16, s20, v10
	v_mad_u64_u32 v[13:14], s[2:3], s20, v9, 0
	v_sub_co_u32_e32 v3, vcc, v3, v7
	v_subb_co_u32_e32 v4, vcc, v4, v8, vcc
	v_add3_u32 v14, v14, v16, v15
	v_mad_u64_u32 v[7:8], s[2:3], s22, v3, v[13:14]
	v_mul_lo_u32 v13, s22, v4
	v_mul_lo_u32 v14, s23, v3
	v_add_co_u32_e32 v3, vcc, -1, v9
	v_addc_co_u32_e32 v4, vcc, -1, v10, vcc
	s_mul_i32 s2, s16, s23
	s_mul_hi_u32 s3, s16, s22
	v_add3_u32 v8, v14, v8, v13
	v_add_co_u32_e32 v0, vcc, v7, v0
	s_add_i32 s2, s3, s2
	s_mul_i32 s3, s17, s22
	v_addc_co_u32_e32 v8, vcc, 0, v8, vcc
	s_add_i32 s2, s2, s3
	s_mul_i32 s3, s16, s22
	v_mov_b32_e32 v9, s11
	v_add_co_u32_e32 v7, vcc, s10, v0
	s_sub_u32 s24, s20, s3
	v_addc_co_u32_e32 v8, vcc, v9, v8, vcc
	s_subb_u32 s46, s21, s2
	s_mov_b64 s[44:45], 0
.LBB0_74:                               ; =>This Inner Loop Header: Depth=1
	global_load_ubyte v0, v[7:8], off
	v_add_co_u32_e32 v3, vcc, 1, v3
	v_addc_co_u32_e32 v4, vcc, 0, v4, vcc
	v_cmp_ge_i64_e64 s[2:3], v[3:4], v[5:6]
	v_mov_b32_e32 v9, s46
	v_add_co_u32_e32 v7, vcc, s24, v7
	v_addc_co_u32_e32 v8, vcc, v8, v9, vcc
	s_or_b64 s[44:45], s[2:3], s[44:45]
	s_waitcnt vmcnt(0)
	v_add_u16_e32 v12, v0, v12
	global_store_byte v[1:2], v12, off
	s_andn2_b64 exec, exec, s[44:45]
	s_cbranch_execnz .LBB0_74
.LBB0_75:
	s_or_b64 exec, exec, s[42:43]
	v_add_u32_e32 v11, 0x100, v11
	s_or_b64 exec, exec, s[18:19]
	v_cmp_gt_i32_e32 vcc, s51, v11
	s_and_saveexec_b64 s[2:3], vcc
	s_cbranch_execz .LBB0_99
.LBB0_76:
	s_and_b64 vcc, exec, s[0:1]
	s_cbranch_vccnz .LBB0_83
; %bb.77:
	v_mov_b32_e32 v2, 0
	s_andn2_b64 vcc, exec, s[40:41]
	v_mov_b32_e32 v0, 0
	v_mov_b32_e32 v4, 0
	s_cbranch_vccnz .LBB0_82
; %bb.78:
	s_add_i32 s0, s31, 1
	s_and_b32 s2, s0, 30
	s_add_u32 s0, s33, 0xffffffe8
	s_addc_u32 s1, s50, -1
	v_mov_b32_e32 v4, 0
	v_mov_b32_e32 v0, 0
	;; [unrolled: 1-line block ×4, first 2 shown]
.LBB0_79:                               ; =>This Inner Loop Header: Depth=1
	s_load_dwordx4 s[40:43], s[0:1], 0x1c
	s_load_dwordx2 s[18:19], s[0:1], 0x2c
	s_load_dwordx2 s[48:49], s[0:1], 0xec
	s_load_dwordx4 s[44:47], s[0:1], 0xdc
	s_add_u32 s0, s0, 24
	s_waitcnt lgkmcnt(0)
	v_mul_hi_u32 v3, s41, v1
	s_addc_u32 s1, s1, 0
	s_add_i32 s2, s2, -2
	s_cmp_eq_u32 s2, 0
	v_add_u32_e32 v3, v1, v3
	v_lshrrev_b32_e32 v3, s42, v3
	v_mul_lo_u32 v5, v3, s40
	v_mul_hi_u32 v6, s18, v3
	v_sub_u32_e32 v5, v1, v5
	v_add_u32_e32 v1, v3, v6
	v_lshrrev_b32_e32 v1, s19, v1
	v_mul_lo_u32 v8, v1, s43
	v_mul_lo_u32 v6, v5, s44
	;; [unrolled: 1-line block ×4, first 2 shown]
	v_sub_u32_e32 v3, v3, v8
	v_mul_lo_u32 v8, v3, s47
	v_mul_lo_u32 v9, v3, s48
	;; [unrolled: 1-line block ×3, first 2 shown]
	v_add3_u32 v2, v6, v2, v8
	v_add3_u32 v0, v7, v0, v9
	;; [unrolled: 1-line block ×3, first 2 shown]
	s_cbranch_scc0 .LBB0_79
; %bb.80:
	s_bitcmp1_b32 s31, 0
	s_cselect_b64 s[2:3], -1, 0
	s_and_b64 vcc, exec, s[2:3]
	s_cbranch_vccnz .LBB0_82
; %bb.81:
	s_load_dwordx2 s[2:3], s[0:1], 0x1c
	s_load_dword s24, s[0:1], 0x24
	s_load_dwordx2 s[18:19], s[0:1], 0xdc
	s_waitcnt lgkmcnt(0)
	v_mul_hi_u32 v3, s3, v1
	v_add_u32_e32 v3, v1, v3
	v_lshrrev_b32_e32 v3, s24, v3
	v_mul_lo_u32 v3, v3, s2
	s_load_dword s2, s[0:1], 0xe4
	v_sub_u32_e32 v5, v1, v3
	v_mad_u64_u32 v[2:3], s[0:1], v5, s18, v[2:3]
	v_mad_u64_u32 v[0:1], s[0:1], v5, s19, v[0:1]
	s_waitcnt lgkmcnt(0)
	v_mad_u64_u32 v[4:5], s[0:1], v5, s2, v[4:5]
.LBB0_82:
	s_cbranch_execz .LBB0_84
	s_branch .LBB0_86
.LBB0_83:
                                        ; implicit-def: $vgpr2
                                        ; implicit-def: $vgpr0
                                        ; implicit-def: $vgpr4
.LBB0_84:
	v_mul_hi_u32 v0, s26, v11
	s_andn2_b64 vcc, exec, s[34:35]
	v_add_u32_e32 v0, v11, v0
	v_lshrrev_b32_e32 v1, s27, v0
	v_mul_lo_u32 v0, v1, s25
	v_sub_u32_e32 v3, v11, v0
	v_mul_lo_u32 v2, v3, s36
	v_mul_lo_u32 v0, v3, s37
	;; [unrolled: 1-line block ×3, first 2 shown]
	s_cbranch_vccnz .LBB0_86
; %bb.85:
	v_mul_hi_u32 v3, s29, v1
	v_add_u32_e32 v3, v1, v3
	v_lshrrev_b32_e32 v3, s30, v3
	v_mul_lo_u32 v3, v3, s28
	v_sub_u32_e32 v5, v1, v3
	v_mad_u64_u32 v[2:3], s[0:1], v5, s39, v[2:3]
	v_mad_u64_u32 v[0:1], s[0:1], v5, s6, v[0:1]
	;; [unrolled: 1-line block ×3, first 2 shown]
.LBB0_86:
	global_load_dwordx2 v[3:4], v4, s[12:13]
	v_mov_b32_e32 v5, 0
	v_mov_b32_e32 v6, 0
	s_waitcnt vmcnt(0)
	v_cmp_lt_i64_e32 vcc, s[14:15], v[3:4]
	s_and_saveexec_b64 s[2:3], vcc
	s_cbranch_execz .LBB0_92
; %bb.87:
	v_mov_b32_e32 v5, s15
	v_subrev_co_u32_e32 v1, vcc, s14, v3
	v_subb_co_u32_e32 v7, vcc, v4, v5, vcc
	v_or_b32_e32 v6, s17, v7
	v_mov_b32_e32 v5, 0
	v_cmp_ne_u64_e32 vcc, 0, v[5:6]
                                        ; implicit-def: $vgpr5_vgpr6
	s_and_saveexec_b64 s[0:1], vcc
	s_xor_b64 s[6:7], exec, s[0:1]
	s_cbranch_execz .LBB0_89
; %bb.88:
	s_ashr_i32 s12, s17, 31
	s_add_u32 s0, s16, s12
	s_mov_b32 s13, s12
	s_addc_u32 s1, s17, s12
	s_xor_b64 s[18:19], s[0:1], s[12:13]
	v_cvt_f32_u32_e32 v5, s18
	v_cvt_f32_u32_e32 v6, s19
	s_sub_u32 s13, 0, s18
	s_subb_u32 s24, 0, s19
	v_ashrrev_i32_e32 v9, 31, v7
	v_madmk_f32 v5, v6, 0x4f800000, v5
	v_rcp_f32_e32 v5, v5
	v_add_co_u32_e32 v1, vcc, v1, v9
	v_xor_b32_e32 v1, v1, v9
	v_mul_f32_e32 v5, 0x5f7ffffc, v5
	v_mul_f32_e32 v6, 0x2f800000, v5
	v_trunc_f32_e32 v6, v6
	v_madmk_f32 v5, v6, 0xcf800000, v5
	v_cvt_u32_f32_e32 v6, v6
	v_cvt_u32_f32_e32 v5, v5
	v_addc_co_u32_e32 v7, vcc, v7, v9, vcc
	v_readfirstlane_b32 s25, v6
	v_readfirstlane_b32 s0, v5
	s_mul_i32 s1, s13, s25
	s_mul_hi_u32 s27, s13, s0
	s_mul_i32 s26, s24, s0
	s_add_i32 s1, s27, s1
	s_add_i32 s1, s1, s26
	s_mul_i32 s28, s13, s0
	s_mul_i32 s27, s0, s1
	s_mul_hi_u32 s29, s0, s28
	s_mul_hi_u32 s26, s0, s1
	s_add_u32 s27, s29, s27
	s_addc_u32 s26, 0, s26
	s_mul_hi_u32 s30, s25, s28
	s_mul_i32 s28, s25, s28
	s_add_u32 s27, s27, s28
	s_mul_hi_u32 s29, s25, s1
	s_addc_u32 s26, s26, s30
	s_addc_u32 s27, s29, 0
	s_mul_i32 s1, s25, s1
	s_add_u32 s1, s26, s1
	s_addc_u32 s26, 0, s27
	s_add_u32 s27, s0, s1
	s_cselect_b64 s[0:1], -1, 0
	s_cmp_lg_u64 s[0:1], 0
	s_addc_u32 s25, s25, s26
	s_mul_i32 s0, s13, s25
	s_mul_hi_u32 s1, s13, s27
	s_add_i32 s0, s1, s0
	s_mul_i32 s24, s24, s27
	s_add_i32 s0, s0, s24
	s_mul_i32 s13, s13, s27
	s_mul_hi_u32 s24, s25, s13
	s_mul_i32 s26, s25, s13
	s_mul_i32 s29, s27, s0
	s_mul_hi_u32 s13, s27, s13
	s_mul_hi_u32 s28, s27, s0
	s_add_u32 s13, s13, s29
	s_addc_u32 s28, 0, s28
	s_add_u32 s13, s13, s26
	s_mul_hi_u32 s1, s25, s0
	s_addc_u32 s13, s28, s24
	s_addc_u32 s1, s1, 0
	s_mul_i32 s0, s25, s0
	s_add_u32 s0, s13, s0
	s_addc_u32 s13, 0, s1
	s_add_u32 s24, s27, s0
	s_cselect_b64 s[0:1], -1, 0
	s_cmp_lg_u64 s[0:1], 0
	s_addc_u32 s13, s25, s13
	v_mad_u64_u32 v[5:6], s[0:1], v1, s13, 0
	v_mul_hi_u32 v8, v1, s24
	v_xor_b32_e32 v10, v7, v9
	v_add_co_u32_e32 v11, vcc, v8, v5
	v_addc_co_u32_e32 v12, vcc, 0, v6, vcc
	v_mad_u64_u32 v[5:6], s[0:1], v10, s24, 0
	v_mad_u64_u32 v[7:8], s[0:1], v10, s13, 0
	v_add_co_u32_e32 v5, vcc, v11, v5
	v_addc_co_u32_e32 v5, vcc, v12, v6, vcc
	v_addc_co_u32_e32 v6, vcc, 0, v8, vcc
	v_add_co_u32_e32 v7, vcc, v5, v7
	v_addc_co_u32_e32 v8, vcc, 0, v6, vcc
	v_mul_lo_u32 v11, s19, v7
	v_mul_lo_u32 v12, s18, v8
	v_mad_u64_u32 v[5:6], s[0:1], s18, v7, 0
	v_add3_u32 v6, v6, v12, v11
	v_sub_u32_e32 v11, v10, v6
	v_mov_b32_e32 v12, s19
	v_sub_co_u32_e32 v1, vcc, v1, v5
	v_subb_co_u32_e64 v5, s[0:1], v11, v12, vcc
	v_subrev_co_u32_e64 v11, s[0:1], s18, v1
	v_subbrev_co_u32_e64 v5, s[0:1], 0, v5, s[0:1]
	v_cmp_le_u32_e64 s[0:1], s19, v5
	v_cndmask_b32_e64 v12, 0, -1, s[0:1]
	v_cmp_le_u32_e64 s[0:1], s18, v11
	v_cndmask_b32_e64 v11, 0, -1, s[0:1]
	v_cmp_eq_u32_e64 s[0:1], s19, v5
	v_cndmask_b32_e64 v5, v12, v11, s[0:1]
	v_add_co_u32_e64 v11, s[0:1], 2, v7
	v_subb_co_u32_e32 v6, vcc, v10, v6, vcc
	v_addc_co_u32_e64 v12, s[0:1], 0, v8, s[0:1]
	v_cmp_le_u32_e32 vcc, s19, v6
	v_add_co_u32_e64 v13, s[0:1], 1, v7
	v_cndmask_b32_e64 v10, 0, -1, vcc
	v_cmp_le_u32_e32 vcc, s18, v1
	v_addc_co_u32_e64 v14, s[0:1], 0, v8, s[0:1]
	v_cndmask_b32_e64 v1, 0, -1, vcc
	v_cmp_eq_u32_e32 vcc, s19, v6
	v_cmp_ne_u32_e64 s[0:1], 0, v5
	v_cndmask_b32_e32 v1, v10, v1, vcc
	v_cndmask_b32_e64 v5, v14, v12, s[0:1]
	v_cmp_ne_u32_e32 vcc, 0, v1
	v_cndmask_b32_e32 v1, v8, v5, vcc
	v_cndmask_b32_e64 v5, v13, v11, s[0:1]
	v_cndmask_b32_e32 v5, v7, v5, vcc
	v_xor_b32_e32 v6, s12, v9
	v_xor_b32_e32 v5, v5, v6
	;; [unrolled: 1-line block ×3, first 2 shown]
	v_sub_co_u32_e32 v5, vcc, v5, v6
	v_subb_co_u32_e32 v6, vcc, v1, v6, vcc
                                        ; implicit-def: $vgpr1
.LBB0_89:
	s_andn2_saveexec_b64 s[0:1], s[6:7]
	s_cbranch_execz .LBB0_91
; %bb.90:
	v_cvt_f32_u32_e32 v5, s16
	s_sub_i32 s6, 0, s16
	v_rcp_iflag_f32_e32 v5, v5
	v_mul_f32_e32 v5, 0x4f7ffffe, v5
	v_cvt_u32_f32_e32 v5, v5
	v_mul_lo_u32 v6, s6, v5
	v_mul_hi_u32 v6, v5, v6
	v_add_u32_e32 v5, v5, v6
	v_mul_hi_u32 v5, v1, v5
	v_mul_lo_u32 v6, v5, s16
	v_add_u32_e32 v7, 1, v5
	v_sub_u32_e32 v1, v1, v6
	v_subrev_u32_e32 v6, s16, v1
	v_cmp_le_u32_e32 vcc, s16, v1
	v_cndmask_b32_e32 v1, v1, v6, vcc
	v_cndmask_b32_e32 v5, v5, v7, vcc
	v_add_u32_e32 v6, 1, v5
	v_cmp_le_u32_e32 vcc, s16, v1
	v_cndmask_b32_e32 v5, v5, v6, vcc
	v_mov_b32_e32 v6, 0
.LBB0_91:
	s_or_b64 exec, exec, s[0:1]
.LBB0_92:
	s_or_b64 exec, exec, s[2:3]
	v_or_b32_e32 v8, s17, v4
	v_mov_b32_e32 v7, 0
	v_cmp_ne_u64_e32 vcc, 0, v[7:8]
                                        ; implicit-def: $vgpr7_vgpr8
	s_and_saveexec_b64 s[0:1], vcc
	s_xor_b64 s[2:3], exec, s[0:1]
	s_cbranch_execz .LBB0_94
; %bb.93:
	s_ashr_i32 s6, s17, 31
	s_add_u32 s0, s16, s6
	s_mov_b32 s7, s6
	s_addc_u32 s1, s17, s6
	s_xor_b64 s[12:13], s[0:1], s[6:7]
	v_cvt_f32_u32_e32 v1, s12
	v_cvt_f32_u32_e32 v7, s13
	s_sub_u32 s7, 0, s12
	s_subb_u32 s18, 0, s13
	v_madmk_f32 v1, v7, 0x4f800000, v1
	v_rcp_f32_e32 v1, v1
	v_mul_f32_e32 v1, 0x5f7ffffc, v1
	v_mul_f32_e32 v7, 0x2f800000, v1
	v_trunc_f32_e32 v7, v7
	v_madmk_f32 v1, v7, 0xcf800000, v1
	v_cvt_u32_f32_e32 v7, v7
	v_cvt_u32_f32_e32 v1, v1
	v_readfirstlane_b32 s19, v7
	v_readfirstlane_b32 s0, v1
	s_mul_i32 s1, s7, s19
	s_mul_hi_u32 s25, s7, s0
	s_mul_i32 s24, s18, s0
	s_add_i32 s1, s25, s1
	s_add_i32 s1, s1, s24
	s_mul_i32 s26, s7, s0
	s_mul_i32 s25, s0, s1
	s_mul_hi_u32 s27, s0, s26
	s_mul_hi_u32 s24, s0, s1
	s_add_u32 s25, s27, s25
	s_addc_u32 s24, 0, s24
	s_mul_hi_u32 s28, s19, s26
	s_mul_i32 s26, s19, s26
	s_add_u32 s25, s25, s26
	s_mul_hi_u32 s27, s19, s1
	s_addc_u32 s24, s24, s28
	s_addc_u32 s25, s27, 0
	s_mul_i32 s1, s19, s1
	s_add_u32 s1, s24, s1
	s_addc_u32 s24, 0, s25
	s_add_u32 s25, s0, s1
	s_cselect_b64 s[0:1], -1, 0
	s_cmp_lg_u64 s[0:1], 0
	s_addc_u32 s19, s19, s24
	s_mul_i32 s0, s7, s19
	s_mul_hi_u32 s1, s7, s25
	s_add_i32 s0, s1, s0
	s_mul_i32 s18, s18, s25
	s_add_i32 s0, s0, s18
	s_mul_i32 s7, s7, s25
	s_mul_hi_u32 s18, s19, s7
	s_mul_i32 s24, s19, s7
	s_mul_i32 s27, s25, s0
	s_mul_hi_u32 s7, s25, s7
	s_mul_hi_u32 s26, s25, s0
	s_add_u32 s7, s7, s27
	s_addc_u32 s26, 0, s26
	s_add_u32 s7, s7, s24
	s_mul_hi_u32 s1, s19, s0
	s_addc_u32 s7, s26, s18
	s_addc_u32 s1, s1, 0
	s_mul_i32 s0, s19, s0
	s_add_u32 s0, s7, s0
	s_addc_u32 s7, 0, s1
	s_add_u32 s18, s25, s0
	s_cselect_b64 s[0:1], -1, 0
	v_ashrrev_i32_e32 v1, 31, v4
	s_cmp_lg_u64 s[0:1], 0
	v_add_co_u32_e32 v7, vcc, v3, v1
	s_addc_u32 s7, s19, s7
	v_xor_b32_e32 v11, v7, v1
	v_mad_u64_u32 v[7:8], s[0:1], v11, s7, 0
	v_mul_hi_u32 v10, v11, s18
	v_addc_co_u32_e32 v9, vcc, v4, v1, vcc
	v_xor_b32_e32 v12, v9, v1
	v_add_co_u32_e32 v13, vcc, v10, v7
	v_addc_co_u32_e32 v14, vcc, 0, v8, vcc
	v_mad_u64_u32 v[7:8], s[0:1], v12, s18, 0
	v_mad_u64_u32 v[9:10], s[0:1], v12, s7, 0
	v_add_co_u32_e32 v7, vcc, v13, v7
	v_addc_co_u32_e32 v7, vcc, v14, v8, vcc
	v_addc_co_u32_e32 v8, vcc, 0, v10, vcc
	v_add_co_u32_e32 v9, vcc, v7, v9
	v_addc_co_u32_e32 v10, vcc, 0, v8, vcc
	v_mul_lo_u32 v13, s13, v9
	v_mul_lo_u32 v14, s12, v10
	v_mad_u64_u32 v[7:8], s[0:1], s12, v9, 0
	v_xor_b32_e32 v1, s6, v1
	v_add3_u32 v8, v8, v14, v13
	v_sub_u32_e32 v13, v12, v8
	v_mov_b32_e32 v14, s13
	v_sub_co_u32_e32 v7, vcc, v11, v7
	v_subb_co_u32_e64 v11, s[0:1], v13, v14, vcc
	v_subrev_co_u32_e64 v13, s[0:1], s12, v7
	v_subbrev_co_u32_e64 v11, s[0:1], 0, v11, s[0:1]
	v_cmp_le_u32_e64 s[0:1], s13, v11
	v_cndmask_b32_e64 v14, 0, -1, s[0:1]
	v_cmp_le_u32_e64 s[0:1], s12, v13
	v_cndmask_b32_e64 v13, 0, -1, s[0:1]
	v_cmp_eq_u32_e64 s[0:1], s13, v11
	v_cndmask_b32_e64 v11, v14, v13, s[0:1]
	v_add_co_u32_e64 v13, s[0:1], 2, v9
	v_subb_co_u32_e32 v8, vcc, v12, v8, vcc
	v_addc_co_u32_e64 v14, s[0:1], 0, v10, s[0:1]
	v_cmp_le_u32_e32 vcc, s13, v8
	v_add_co_u32_e64 v15, s[0:1], 1, v9
	v_cndmask_b32_e64 v12, 0, -1, vcc
	v_cmp_le_u32_e32 vcc, s12, v7
	v_addc_co_u32_e64 v16, s[0:1], 0, v10, s[0:1]
	v_cndmask_b32_e64 v7, 0, -1, vcc
	v_cmp_eq_u32_e32 vcc, s13, v8
	v_cmp_ne_u32_e64 s[0:1], 0, v11
	v_cndmask_b32_e32 v7, v12, v7, vcc
	v_cndmask_b32_e64 v11, v16, v14, s[0:1]
	v_cmp_ne_u32_e32 vcc, 0, v7
	v_cndmask_b32_e64 v8, v15, v13, s[0:1]
	v_cndmask_b32_e32 v7, v10, v11, vcc
	v_cndmask_b32_e32 v8, v9, v8, vcc
	v_xor_b32_e32 v9, v7, v1
	v_xor_b32_e32 v7, v8, v1
	v_sub_co_u32_e32 v7, vcc, v7, v1
	v_subb_co_u32_e32 v8, vcc, v9, v1, vcc
.LBB0_94:
	s_andn2_saveexec_b64 s[0:1], s[2:3]
	s_cbranch_execz .LBB0_96
; %bb.95:
	v_cvt_f32_u32_e32 v1, s16
	s_sub_i32 s2, 0, s16
	v_rcp_iflag_f32_e32 v1, v1
	v_mul_f32_e32 v1, 0x4f7ffffe, v1
	v_cvt_u32_f32_e32 v1, v1
	v_mul_lo_u32 v7, s2, v1
	v_mul_hi_u32 v7, v1, v7
	v_add_u32_e32 v1, v1, v7
	v_mul_hi_u32 v1, v3, v1
	v_mul_lo_u32 v7, v1, s16
	v_add_u32_e32 v8, 1, v1
	v_sub_u32_e32 v7, v3, v7
	v_subrev_u32_e32 v9, s16, v7
	v_cmp_le_u32_e32 vcc, s16, v7
	v_cndmask_b32_e32 v7, v7, v9, vcc
	v_cndmask_b32_e32 v1, v1, v8, vcc
	v_add_u32_e32 v8, 1, v1
	v_cmp_le_u32_e32 vcc, s16, v7
	v_cndmask_b32_e32 v7, v1, v8, vcc
	v_mov_b32_e32 v8, 0
.LBB0_96:
	s_or_b64 exec, exec, s[0:1]
	v_mul_lo_u32 v1, v6, s16
	v_mul_lo_u32 v11, v5, s17
	v_mad_u64_u32 v[9:10], s[0:1], v5, s16, 0
	v_add3_u32 v10, v10, v11, v1
	v_cmp_gt_i64_e32 vcc, v[9:10], v[3:4]
	v_mov_b32_e32 v1, s15
	v_add_co_u32_e64 v9, s[0:1], s14, v9
	v_addc_co_u32_e64 v10, s[0:1], v10, v1, s[0:1]
	v_cmp_ge_i64_e64 s[0:1], v[3:4], v[9:10]
	s_or_b64 s[0:1], vcc, s[0:1]
	v_cndmask_b32_e64 v1, 0, 1, s[0:1]
	v_add_co_u32_e32 v9, vcc, v5, v1
	v_addc_co_u32_e32 v10, vcc, 0, v6, vcc
	v_cmp_gt_i64_e32 vcc, s[4:5], v[7:8]
	v_mov_b32_e32 v1, s5
	v_cndmask_b32_e32 v6, v1, v8, vcc
	v_mov_b32_e32 v1, s4
	v_cndmask_b32_e32 v5, v1, v7, vcc
	v_cmp_le_i64_e32 vcc, v[9:10], v[5:6]
	s_and_b64 exec, exec, vcc
	s_cbranch_execz .LBB0_99
; %bb.97:
	global_load_ubyte v11, v2, s[8:9]
	v_mul_lo_u32 v13, s17, v9
	v_mul_lo_u32 v14, s16, v10
	v_mad_u64_u32 v[7:8], s[0:1], s16, v9, 0
	v_mov_b32_e32 v12, s9
	v_add_co_u32_e32 v1, vcc, s8, v2
	v_addc_co_u32_e32 v2, vcc, 0, v12, vcc
	v_add3_u32 v8, v8, v14, v13
	v_mul_lo_u32 v14, s21, v9
	v_mul_lo_u32 v15, s20, v10
	v_mad_u64_u32 v[12:13], s[0:1], s20, v9, 0
	v_sub_co_u32_e32 v3, vcc, v3, v7
	v_subb_co_u32_e32 v4, vcc, v4, v8, vcc
	v_add3_u32 v13, v13, v15, v14
	v_mad_u64_u32 v[7:8], s[0:1], s22, v3, v[12:13]
	v_mul_lo_u32 v12, s22, v4
	v_mul_lo_u32 v13, s23, v3
	v_add_co_u32_e32 v3, vcc, -1, v9
	v_addc_co_u32_e32 v4, vcc, -1, v10, vcc
	s_mul_i32 s0, s16, s23
	s_mul_hi_u32 s1, s16, s22
	v_add3_u32 v8, v13, v8, v12
	v_add_co_u32_e32 v0, vcc, v7, v0
	s_add_i32 s0, s1, s0
	s_mul_i32 s1, s17, s22
	v_addc_co_u32_e32 v8, vcc, 0, v8, vcc
	s_add_i32 s0, s0, s1
	s_mul_i32 s1, s16, s22
	v_mov_b32_e32 v9, s11
	v_add_co_u32_e32 v7, vcc, s10, v0
	s_sub_u32 s4, s20, s1
	v_addc_co_u32_e32 v8, vcc, v9, v8, vcc
	s_subb_u32 s5, s21, s0
	s_mov_b64 s[2:3], 0
.LBB0_98:                               ; =>This Inner Loop Header: Depth=1
	global_load_ubyte v0, v[7:8], off
	v_add_co_u32_e32 v3, vcc, 1, v3
	v_addc_co_u32_e32 v4, vcc, 0, v4, vcc
	v_cmp_ge_i64_e64 s[0:1], v[3:4], v[5:6]
	v_mov_b32_e32 v9, s5
	v_add_co_u32_e32 v7, vcc, s4, v7
	v_addc_co_u32_e32 v8, vcc, v8, v9, vcc
	s_or_b64 s[2:3], s[0:1], s[2:3]
	s_waitcnt vmcnt(0)
	v_add_u16_e32 v11, v0, v11
	global_store_byte v[1:2], v11, off
	s_andn2_b64 exec, exec, s[2:3]
	s_cbranch_execnz .LBB0_98
.LBB0_99:
	s_endpgm
	.section	.rodata,"a",@progbits
	.p2align	6, 0x0
	.amdhsa_kernel _ZN2at6native12_GLOBAL__N_135_unfold_backward_elementwise_kernelILi256ELi4EZNS1_32_unfold_backward_internal_kernelIhEEvRNS_14TensorIteratorEllllllEUliE_EEviT1_
		.amdhsa_group_segment_fixed_size 0
		.amdhsa_private_segment_fixed_size 0
		.amdhsa_kernarg_size 464
		.amdhsa_user_sgpr_count 6
		.amdhsa_user_sgpr_private_segment_buffer 1
		.amdhsa_user_sgpr_dispatch_ptr 0
		.amdhsa_user_sgpr_queue_ptr 0
		.amdhsa_user_sgpr_kernarg_segment_ptr 1
		.amdhsa_user_sgpr_dispatch_id 0
		.amdhsa_user_sgpr_flat_scratch_init 0
		.amdhsa_user_sgpr_private_segment_size 0
		.amdhsa_uses_dynamic_stack 0
		.amdhsa_system_sgpr_private_segment_wavefront_offset 0
		.amdhsa_system_sgpr_workgroup_id_x 1
		.amdhsa_system_sgpr_workgroup_id_y 0
		.amdhsa_system_sgpr_workgroup_id_z 0
		.amdhsa_system_sgpr_workgroup_info 0
		.amdhsa_system_vgpr_workitem_id 0
		.amdhsa_next_free_vgpr 18
		.amdhsa_next_free_sgpr 58
		.amdhsa_reserve_vcc 1
		.amdhsa_reserve_flat_scratch 0
		.amdhsa_float_round_mode_32 0
		.amdhsa_float_round_mode_16_64 0
		.amdhsa_float_denorm_mode_32 3
		.amdhsa_float_denorm_mode_16_64 3
		.amdhsa_dx10_clamp 1
		.amdhsa_ieee_mode 1
		.amdhsa_fp16_overflow 0
		.amdhsa_exception_fp_ieee_invalid_op 0
		.amdhsa_exception_fp_denorm_src 0
		.amdhsa_exception_fp_ieee_div_zero 0
		.amdhsa_exception_fp_ieee_overflow 0
		.amdhsa_exception_fp_ieee_underflow 0
		.amdhsa_exception_fp_ieee_inexact 0
		.amdhsa_exception_int_div_zero 0
	.end_amdhsa_kernel
	.section	.text._ZN2at6native12_GLOBAL__N_135_unfold_backward_elementwise_kernelILi256ELi4EZNS1_32_unfold_backward_internal_kernelIhEEvRNS_14TensorIteratorEllllllEUliE_EEviT1_,"axG",@progbits,_ZN2at6native12_GLOBAL__N_135_unfold_backward_elementwise_kernelILi256ELi4EZNS1_32_unfold_backward_internal_kernelIhEEvRNS_14TensorIteratorEllllllEUliE_EEviT1_,comdat
.Lfunc_end0:
	.size	_ZN2at6native12_GLOBAL__N_135_unfold_backward_elementwise_kernelILi256ELi4EZNS1_32_unfold_backward_internal_kernelIhEEvRNS_14TensorIteratorEllllllEUliE_EEviT1_, .Lfunc_end0-_ZN2at6native12_GLOBAL__N_135_unfold_backward_elementwise_kernelILi256ELi4EZNS1_32_unfold_backward_internal_kernelIhEEvRNS_14TensorIteratorEllllllEUliE_EEviT1_
                                        ; -- End function
	.set _ZN2at6native12_GLOBAL__N_135_unfold_backward_elementwise_kernelILi256ELi4EZNS1_32_unfold_backward_internal_kernelIhEEvRNS_14TensorIteratorEllllllEUliE_EEviT1_.num_vgpr, 18
	.set _ZN2at6native12_GLOBAL__N_135_unfold_backward_elementwise_kernelILi256ELi4EZNS1_32_unfold_backward_internal_kernelIhEEvRNS_14TensorIteratorEllllllEUliE_EEviT1_.num_agpr, 0
	.set _ZN2at6native12_GLOBAL__N_135_unfold_backward_elementwise_kernelILi256ELi4EZNS1_32_unfold_backward_internal_kernelIhEEvRNS_14TensorIteratorEllllllEUliE_EEviT1_.numbered_sgpr, 58
	.set _ZN2at6native12_GLOBAL__N_135_unfold_backward_elementwise_kernelILi256ELi4EZNS1_32_unfold_backward_internal_kernelIhEEvRNS_14TensorIteratorEllllllEUliE_EEviT1_.num_named_barrier, 0
	.set _ZN2at6native12_GLOBAL__N_135_unfold_backward_elementwise_kernelILi256ELi4EZNS1_32_unfold_backward_internal_kernelIhEEvRNS_14TensorIteratorEllllllEUliE_EEviT1_.private_seg_size, 0
	.set _ZN2at6native12_GLOBAL__N_135_unfold_backward_elementwise_kernelILi256ELi4EZNS1_32_unfold_backward_internal_kernelIhEEvRNS_14TensorIteratorEllllllEUliE_EEviT1_.uses_vcc, 1
	.set _ZN2at6native12_GLOBAL__N_135_unfold_backward_elementwise_kernelILi256ELi4EZNS1_32_unfold_backward_internal_kernelIhEEvRNS_14TensorIteratorEllllllEUliE_EEviT1_.uses_flat_scratch, 0
	.set _ZN2at6native12_GLOBAL__N_135_unfold_backward_elementwise_kernelILi256ELi4EZNS1_32_unfold_backward_internal_kernelIhEEvRNS_14TensorIteratorEllllllEUliE_EEviT1_.has_dyn_sized_stack, 0
	.set _ZN2at6native12_GLOBAL__N_135_unfold_backward_elementwise_kernelILi256ELi4EZNS1_32_unfold_backward_internal_kernelIhEEvRNS_14TensorIteratorEllllllEUliE_EEviT1_.has_recursion, 0
	.set _ZN2at6native12_GLOBAL__N_135_unfold_backward_elementwise_kernelILi256ELi4EZNS1_32_unfold_backward_internal_kernelIhEEvRNS_14TensorIteratorEllllllEUliE_EEviT1_.has_indirect_call, 0
	.section	.AMDGPU.csdata,"",@progbits
; Kernel info:
; codeLenInByte = 9832
; TotalNumSgprs: 62
; NumVgprs: 18
; ScratchSize: 0
; MemoryBound: 0
; FloatMode: 240
; IeeeMode: 1
; LDSByteSize: 0 bytes/workgroup (compile time only)
; SGPRBlocks: 7
; VGPRBlocks: 4
; NumSGPRsForWavesPerEU: 62
; NumVGPRsForWavesPerEU: 18
; Occupancy: 10
; WaveLimiterHint : 1
; COMPUTE_PGM_RSRC2:SCRATCH_EN: 0
; COMPUTE_PGM_RSRC2:USER_SGPR: 6
; COMPUTE_PGM_RSRC2:TRAP_HANDLER: 0
; COMPUTE_PGM_RSRC2:TGID_X_EN: 1
; COMPUTE_PGM_RSRC2:TGID_Y_EN: 0
; COMPUTE_PGM_RSRC2:TGID_Z_EN: 0
; COMPUTE_PGM_RSRC2:TIDIG_COMP_CNT: 0
	.section	.text._ZN2at6native12_GLOBAL__N_135_unfold_backward_elementwise_kernelILi256ELi4EZNS1_32_unfold_backward_internal_kernelIaEEvRNS_14TensorIteratorEllllllEUliE_EEviT1_,"axG",@progbits,_ZN2at6native12_GLOBAL__N_135_unfold_backward_elementwise_kernelILi256ELi4EZNS1_32_unfold_backward_internal_kernelIaEEvRNS_14TensorIteratorEllllllEUliE_EEviT1_,comdat
	.globl	_ZN2at6native12_GLOBAL__N_135_unfold_backward_elementwise_kernelILi256ELi4EZNS1_32_unfold_backward_internal_kernelIaEEvRNS_14TensorIteratorEllllllEUliE_EEviT1_ ; -- Begin function _ZN2at6native12_GLOBAL__N_135_unfold_backward_elementwise_kernelILi256ELi4EZNS1_32_unfold_backward_internal_kernelIaEEvRNS_14TensorIteratorEllllllEUliE_EEviT1_
	.p2align	8
	.type	_ZN2at6native12_GLOBAL__N_135_unfold_backward_elementwise_kernelILi256ELi4EZNS1_32_unfold_backward_internal_kernelIaEEvRNS_14TensorIteratorEllllllEUliE_EEviT1_,@function
_ZN2at6native12_GLOBAL__N_135_unfold_backward_elementwise_kernelILi256ELi4EZNS1_32_unfold_backward_internal_kernelIaEEvRNS_14TensorIteratorEllllllEUliE_EEviT1_: ; @_ZN2at6native12_GLOBAL__N_135_unfold_backward_elementwise_kernelILi256ELi4EZNS1_32_unfold_backward_internal_kernelIaEEvRNS_14TensorIteratorEllllllEUliE_EEviT1_
; %bb.0:
	s_load_dword s51, s[4:5], 0x0
	s_load_dwordx8 s[24:31], s[4:5], 0x8
	s_add_u32 s33, s4, 8
	v_lshl_or_b32 v11, s6, 10, v0
	s_addc_u32 s50, s5, 0
	s_load_dwordx16 s[8:23], s[4:5], 0x190
	s_load_dwordx4 s[36:39], s[4:5], 0xcc
	s_load_dwordx2 s[6:7], s[4:5], 0xdc
	s_waitcnt lgkmcnt(0)
	v_sub_co_u32_e64 v0, s[0:1], s24, 1
	s_xor_b64 s[40:41], s[0:1], -1
	v_readfirstlane_b32 s0, v0
	s_min_u32 s31, s0, 15
	s_cmp_gt_u32 s24, 1
	v_cmp_lt_u32_e64 s[0:1], 1, v0
	s_cselect_b64 s[34:35], -1, 0
	s_add_u32 s4, s18, -1
	v_cndmask_b32_e64 v0, 0, 1, s[0:1]
	s_mov_b64 s[2:3], -1
	s_addc_u32 s5, s19, -1
	v_cmp_gt_i32_e32 vcc, s51, v11
	v_cmp_ne_u32_e64 s[0:1], 1, v0
	s_and_saveexec_b64 s[18:19], vcc
	s_cbranch_execnz .LBB1_4
; %bb.1:
	s_or_b64 exec, exec, s[18:19]
	v_cmp_gt_i32_e32 vcc, s51, v11
	s_and_saveexec_b64 s[18:19], vcc
	s_cbranch_execnz .LBB1_28
.LBB1_2:
	s_or_b64 exec, exec, s[18:19]
	v_cmp_gt_i32_e32 vcc, s51, v11
	s_and_saveexec_b64 s[18:19], vcc
	s_cbranch_execnz .LBB1_52
.LBB1_3:
	s_or_b64 exec, exec, s[18:19]
	v_cmp_gt_i32_e32 vcc, s51, v11
	s_and_saveexec_b64 s[2:3], vcc
	s_cbranch_execnz .LBB1_76
	s_branch .LBB1_99
.LBB1_4:
	s_and_b64 vcc, exec, s[0:1]
                                        ; implicit-def: $vgpr2
                                        ; implicit-def: $vgpr0
                                        ; implicit-def: $vgpr4
	s_cbranch_vccnz .LBB1_11
; %bb.5:
	v_mov_b32_e32 v2, 0
	s_andn2_b64 vcc, exec, s[40:41]
	v_mov_b32_e32 v0, 0
	v_mov_b32_e32 v4, 0
	s_cbranch_vccnz .LBB1_10
; %bb.6:
	s_add_i32 s2, s31, 1
	s_and_b32 s24, s2, 30
	s_add_u32 s2, s33, 0xffffffe8
	s_addc_u32 s3, s50, -1
	v_mov_b32_e32 v4, 0
	v_mov_b32_e32 v0, 0
	;; [unrolled: 1-line block ×4, first 2 shown]
.LBB1_7:                                ; =>This Inner Loop Header: Depth=1
	s_load_dwordx4 s[44:47], s[2:3], 0x1c
	s_load_dwordx2 s[42:43], s[2:3], 0x2c
	s_load_dwordx2 s[48:49], s[2:3], 0xec
	s_load_dwordx4 s[52:55], s[2:3], 0xdc
	s_add_u32 s2, s2, 24
	s_waitcnt lgkmcnt(0)
	v_mul_hi_u32 v3, s45, v1
	s_addc_u32 s3, s3, 0
	s_add_i32 s24, s24, -2
	s_cmp_lg_u32 s24, 0
	v_add_u32_e32 v3, v1, v3
	v_lshrrev_b32_e32 v3, s46, v3
	v_mul_lo_u32 v5, v3, s44
	v_mul_hi_u32 v6, s42, v3
	v_sub_u32_e32 v5, v1, v5
	v_add_u32_e32 v1, v3, v6
	v_lshrrev_b32_e32 v1, s43, v1
	v_mul_lo_u32 v8, v1, s47
	v_mul_lo_u32 v6, v5, s52
	;; [unrolled: 1-line block ×4, first 2 shown]
	v_sub_u32_e32 v3, v3, v8
	v_mul_lo_u32 v8, v3, s55
	v_mul_lo_u32 v9, v3, s48
	;; [unrolled: 1-line block ×3, first 2 shown]
	v_add3_u32 v2, v6, v2, v8
	v_add3_u32 v0, v7, v0, v9
	v_add3_u32 v4, v5, v4, v3
	s_cbranch_scc1 .LBB1_7
; %bb.8:
	s_bitcmp1_b32 s31, 0
	s_cselect_b64 s[42:43], -1, 0
	s_and_b64 vcc, exec, s[42:43]
	s_cbranch_vccnz .LBB1_10
; %bb.9:
	s_load_dwordx2 s[42:43], s[2:3], 0x1c
	s_load_dword s24, s[2:3], 0x24
	s_load_dwordx2 s[44:45], s[2:3], 0xdc
	s_waitcnt lgkmcnt(0)
	v_mul_hi_u32 v3, s43, v1
	v_add_u32_e32 v3, v1, v3
	v_lshrrev_b32_e32 v3, s24, v3
	v_mul_lo_u32 v3, v3, s42
	s_load_dword s24, s[2:3], 0xe4
	v_sub_u32_e32 v5, v1, v3
	v_mad_u64_u32 v[2:3], s[2:3], v5, s44, v[2:3]
	v_mad_u64_u32 v[0:1], s[2:3], v5, s45, v[0:1]
	s_waitcnt lgkmcnt(0)
	v_mad_u64_u32 v[4:5], s[2:3], v5, s24, v[4:5]
.LBB1_10:
	s_mov_b64 s[2:3], 0
.LBB1_11:
	s_andn2_b64 vcc, exec, s[2:3]
	s_cbranch_vccnz .LBB1_14
; %bb.12:
	v_mul_hi_u32 v0, s26, v11
	s_andn2_b64 vcc, exec, s[34:35]
	v_add_u32_e32 v0, v11, v0
	v_lshrrev_b32_e32 v1, s27, v0
	v_mul_lo_u32 v0, v1, s25
	v_sub_u32_e32 v3, v11, v0
	v_mul_lo_u32 v2, v3, s36
	v_mul_lo_u32 v0, v3, s37
	;; [unrolled: 1-line block ×3, first 2 shown]
	s_cbranch_vccnz .LBB1_14
; %bb.13:
	v_mul_hi_u32 v3, s29, v1
	v_add_u32_e32 v3, v1, v3
	v_lshrrev_b32_e32 v3, s30, v3
	v_mul_lo_u32 v3, v3, s28
	v_sub_u32_e32 v5, v1, v3
	v_mad_u64_u32 v[2:3], s[2:3], v5, s39, v[2:3]
	v_mad_u64_u32 v[0:1], s[2:3], v5, s6, v[0:1]
	;; [unrolled: 1-line block ×3, first 2 shown]
.LBB1_14:
	global_load_dwordx2 v[3:4], v4, s[12:13]
	v_mov_b32_e32 v5, 0
	v_mov_b32_e32 v6, 0
	s_waitcnt vmcnt(0)
	v_cmp_lt_i64_e32 vcc, s[14:15], v[3:4]
	s_and_saveexec_b64 s[42:43], vcc
	s_cbranch_execz .LBB1_20
; %bb.15:
	v_mov_b32_e32 v5, s15
	v_subrev_co_u32_e32 v1, vcc, s14, v3
	v_subb_co_u32_e32 v7, vcc, v4, v5, vcc
	v_or_b32_e32 v6, s17, v7
	v_mov_b32_e32 v5, 0
	v_cmp_ne_u64_e32 vcc, 0, v[5:6]
                                        ; implicit-def: $vgpr5_vgpr6
	s_and_saveexec_b64 s[2:3], vcc
	s_xor_b64 s[44:45], exec, s[2:3]
	s_cbranch_execz .LBB1_17
; %bb.16:
	s_ashr_i32 s46, s17, 31
	s_add_u32 s2, s16, s46
	s_mov_b32 s47, s46
	s_addc_u32 s3, s17, s46
	s_xor_b64 s[48:49], s[2:3], s[46:47]
	v_cvt_f32_u32_e32 v5, s48
	v_cvt_f32_u32_e32 v6, s49
	s_sub_u32 s24, 0, s48
	s_subb_u32 s47, 0, s49
	v_ashrrev_i32_e32 v9, 31, v7
	v_madmk_f32 v5, v6, 0x4f800000, v5
	v_rcp_f32_e32 v5, v5
	v_add_co_u32_e32 v1, vcc, v1, v9
	v_xor_b32_e32 v1, v1, v9
	v_mul_f32_e32 v5, 0x5f7ffffc, v5
	v_mul_f32_e32 v6, 0x2f800000, v5
	v_trunc_f32_e32 v6, v6
	v_madmk_f32 v5, v6, 0xcf800000, v5
	v_cvt_u32_f32_e32 v6, v6
	v_cvt_u32_f32_e32 v5, v5
	v_addc_co_u32_e32 v7, vcc, v7, v9, vcc
	v_readfirstlane_b32 s52, v6
	v_readfirstlane_b32 s2, v5
	s_mul_i32 s3, s24, s52
	s_mul_hi_u32 s54, s24, s2
	s_mul_i32 s53, s47, s2
	s_add_i32 s3, s54, s3
	s_add_i32 s3, s3, s53
	s_mul_i32 s55, s24, s2
	s_mul_i32 s54, s2, s3
	s_mul_hi_u32 s56, s2, s55
	s_mul_hi_u32 s53, s2, s3
	s_add_u32 s54, s56, s54
	s_addc_u32 s53, 0, s53
	s_mul_hi_u32 s57, s52, s55
	s_mul_i32 s55, s52, s55
	s_add_u32 s54, s54, s55
	s_mul_hi_u32 s56, s52, s3
	s_addc_u32 s53, s53, s57
	s_addc_u32 s54, s56, 0
	s_mul_i32 s3, s52, s3
	s_add_u32 s3, s53, s3
	s_addc_u32 s53, 0, s54
	s_add_u32 s54, s2, s3
	s_cselect_b64 s[2:3], -1, 0
	s_cmp_lg_u64 s[2:3], 0
	s_addc_u32 s52, s52, s53
	s_mul_i32 s2, s24, s52
	s_mul_hi_u32 s3, s24, s54
	s_add_i32 s2, s3, s2
	s_mul_i32 s47, s47, s54
	s_add_i32 s2, s2, s47
	s_mul_i32 s24, s24, s54
	s_mul_hi_u32 s47, s52, s24
	s_mul_i32 s53, s52, s24
	s_mul_i32 s56, s54, s2
	s_mul_hi_u32 s24, s54, s24
	s_mul_hi_u32 s55, s54, s2
	s_add_u32 s24, s24, s56
	s_addc_u32 s55, 0, s55
	s_add_u32 s24, s24, s53
	s_mul_hi_u32 s3, s52, s2
	s_addc_u32 s24, s55, s47
	s_addc_u32 s3, s3, 0
	s_mul_i32 s2, s52, s2
	s_add_u32 s2, s24, s2
	s_addc_u32 s24, 0, s3
	s_add_u32 s47, s54, s2
	s_cselect_b64 s[2:3], -1, 0
	s_cmp_lg_u64 s[2:3], 0
	s_addc_u32 s24, s52, s24
	v_mad_u64_u32 v[5:6], s[2:3], v1, s24, 0
	v_mul_hi_u32 v8, v1, s47
	v_xor_b32_e32 v10, v7, v9
	v_add_co_u32_e32 v12, vcc, v8, v5
	v_addc_co_u32_e32 v13, vcc, 0, v6, vcc
	v_mad_u64_u32 v[5:6], s[2:3], v10, s47, 0
	v_mad_u64_u32 v[7:8], s[2:3], v10, s24, 0
	v_add_co_u32_e32 v5, vcc, v12, v5
	v_addc_co_u32_e32 v5, vcc, v13, v6, vcc
	v_addc_co_u32_e32 v6, vcc, 0, v8, vcc
	v_add_co_u32_e32 v7, vcc, v5, v7
	v_addc_co_u32_e32 v8, vcc, 0, v6, vcc
	v_mul_lo_u32 v12, s49, v7
	v_mul_lo_u32 v13, s48, v8
	v_mad_u64_u32 v[5:6], s[2:3], s48, v7, 0
	v_add3_u32 v6, v6, v13, v12
	v_sub_u32_e32 v12, v10, v6
	v_mov_b32_e32 v13, s49
	v_sub_co_u32_e32 v1, vcc, v1, v5
	v_subb_co_u32_e64 v5, s[2:3], v12, v13, vcc
	v_subrev_co_u32_e64 v12, s[2:3], s48, v1
	v_subbrev_co_u32_e64 v5, s[2:3], 0, v5, s[2:3]
	v_cmp_le_u32_e64 s[2:3], s49, v5
	v_cndmask_b32_e64 v13, 0, -1, s[2:3]
	v_cmp_le_u32_e64 s[2:3], s48, v12
	v_cndmask_b32_e64 v12, 0, -1, s[2:3]
	v_cmp_eq_u32_e64 s[2:3], s49, v5
	v_cndmask_b32_e64 v5, v13, v12, s[2:3]
	v_add_co_u32_e64 v12, s[2:3], 2, v7
	v_subb_co_u32_e32 v6, vcc, v10, v6, vcc
	v_addc_co_u32_e64 v13, s[2:3], 0, v8, s[2:3]
	v_cmp_le_u32_e32 vcc, s49, v6
	v_add_co_u32_e64 v14, s[2:3], 1, v7
	v_cndmask_b32_e64 v10, 0, -1, vcc
	v_cmp_le_u32_e32 vcc, s48, v1
	v_addc_co_u32_e64 v15, s[2:3], 0, v8, s[2:3]
	v_cndmask_b32_e64 v1, 0, -1, vcc
	v_cmp_eq_u32_e32 vcc, s49, v6
	v_cmp_ne_u32_e64 s[2:3], 0, v5
	v_cndmask_b32_e32 v1, v10, v1, vcc
	v_cndmask_b32_e64 v5, v15, v13, s[2:3]
	v_cmp_ne_u32_e32 vcc, 0, v1
	v_cndmask_b32_e32 v1, v8, v5, vcc
	v_cndmask_b32_e64 v5, v14, v12, s[2:3]
	v_cndmask_b32_e32 v5, v7, v5, vcc
	v_xor_b32_e32 v6, s46, v9
	v_xor_b32_e32 v5, v5, v6
	;; [unrolled: 1-line block ×3, first 2 shown]
	v_sub_co_u32_e32 v5, vcc, v5, v6
	v_subb_co_u32_e32 v6, vcc, v1, v6, vcc
                                        ; implicit-def: $vgpr1
.LBB1_17:
	s_andn2_saveexec_b64 s[2:3], s[44:45]
	s_cbranch_execz .LBB1_19
; %bb.18:
	v_cvt_f32_u32_e32 v5, s16
	s_sub_i32 s24, 0, s16
	v_rcp_iflag_f32_e32 v5, v5
	v_mul_f32_e32 v5, 0x4f7ffffe, v5
	v_cvt_u32_f32_e32 v5, v5
	v_mul_lo_u32 v6, s24, v5
	v_mul_hi_u32 v6, v5, v6
	v_add_u32_e32 v5, v5, v6
	v_mul_hi_u32 v5, v1, v5
	v_mul_lo_u32 v6, v5, s16
	v_add_u32_e32 v7, 1, v5
	v_sub_u32_e32 v1, v1, v6
	v_subrev_u32_e32 v6, s16, v1
	v_cmp_le_u32_e32 vcc, s16, v1
	v_cndmask_b32_e32 v1, v1, v6, vcc
	v_cndmask_b32_e32 v5, v5, v7, vcc
	v_add_u32_e32 v6, 1, v5
	v_cmp_le_u32_e32 vcc, s16, v1
	v_cndmask_b32_e32 v5, v5, v6, vcc
	v_mov_b32_e32 v6, 0
.LBB1_19:
	s_or_b64 exec, exec, s[2:3]
.LBB1_20:
	s_or_b64 exec, exec, s[42:43]
	v_or_b32_e32 v8, s17, v4
	v_mov_b32_e32 v7, 0
	v_cmp_ne_u64_e32 vcc, 0, v[7:8]
                                        ; implicit-def: $vgpr7_vgpr8
	s_and_saveexec_b64 s[2:3], vcc
	s_xor_b64 s[42:43], exec, s[2:3]
	s_cbranch_execz .LBB1_22
; %bb.21:
	s_ashr_i32 s44, s17, 31
	s_add_u32 s2, s16, s44
	s_mov_b32 s45, s44
	s_addc_u32 s3, s17, s44
	s_xor_b64 s[46:47], s[2:3], s[44:45]
	v_cvt_f32_u32_e32 v1, s46
	v_cvt_f32_u32_e32 v7, s47
	s_sub_u32 s24, 0, s46
	s_subb_u32 s45, 0, s47
	v_madmk_f32 v1, v7, 0x4f800000, v1
	v_rcp_f32_e32 v1, v1
	v_mul_f32_e32 v1, 0x5f7ffffc, v1
	v_mul_f32_e32 v7, 0x2f800000, v1
	v_trunc_f32_e32 v7, v7
	v_madmk_f32 v1, v7, 0xcf800000, v1
	v_cvt_u32_f32_e32 v7, v7
	v_cvt_u32_f32_e32 v1, v1
	v_readfirstlane_b32 s48, v7
	v_readfirstlane_b32 s2, v1
	s_mul_i32 s3, s24, s48
	s_mul_hi_u32 s52, s24, s2
	s_mul_i32 s49, s45, s2
	s_add_i32 s3, s52, s3
	s_add_i32 s3, s3, s49
	s_mul_i32 s53, s24, s2
	s_mul_i32 s52, s2, s3
	s_mul_hi_u32 s54, s2, s53
	s_mul_hi_u32 s49, s2, s3
	s_add_u32 s52, s54, s52
	s_addc_u32 s49, 0, s49
	s_mul_hi_u32 s55, s48, s53
	s_mul_i32 s53, s48, s53
	s_add_u32 s52, s52, s53
	s_mul_hi_u32 s54, s48, s3
	s_addc_u32 s49, s49, s55
	s_addc_u32 s52, s54, 0
	s_mul_i32 s3, s48, s3
	s_add_u32 s3, s49, s3
	s_addc_u32 s49, 0, s52
	s_add_u32 s52, s2, s3
	s_cselect_b64 s[2:3], -1, 0
	s_cmp_lg_u64 s[2:3], 0
	s_addc_u32 s48, s48, s49
	s_mul_i32 s2, s24, s48
	s_mul_hi_u32 s3, s24, s52
	s_add_i32 s2, s3, s2
	s_mul_i32 s45, s45, s52
	s_add_i32 s2, s2, s45
	s_mul_i32 s24, s24, s52
	s_mul_hi_u32 s45, s48, s24
	s_mul_i32 s49, s48, s24
	s_mul_i32 s54, s52, s2
	s_mul_hi_u32 s24, s52, s24
	s_mul_hi_u32 s53, s52, s2
	s_add_u32 s24, s24, s54
	s_addc_u32 s53, 0, s53
	s_add_u32 s24, s24, s49
	s_mul_hi_u32 s3, s48, s2
	s_addc_u32 s24, s53, s45
	s_addc_u32 s3, s3, 0
	s_mul_i32 s2, s48, s2
	s_add_u32 s2, s24, s2
	s_addc_u32 s24, 0, s3
	s_add_u32 s45, s52, s2
	s_cselect_b64 s[2:3], -1, 0
	v_ashrrev_i32_e32 v1, 31, v4
	s_cmp_lg_u64 s[2:3], 0
	v_add_co_u32_e32 v7, vcc, v3, v1
	s_addc_u32 s24, s48, s24
	v_xor_b32_e32 v12, v7, v1
	v_mad_u64_u32 v[7:8], s[2:3], v12, s24, 0
	v_mul_hi_u32 v10, v12, s45
	v_addc_co_u32_e32 v9, vcc, v4, v1, vcc
	v_xor_b32_e32 v13, v9, v1
	v_add_co_u32_e32 v14, vcc, v10, v7
	v_addc_co_u32_e32 v15, vcc, 0, v8, vcc
	v_mad_u64_u32 v[7:8], s[2:3], v13, s45, 0
	v_mad_u64_u32 v[9:10], s[2:3], v13, s24, 0
	v_add_co_u32_e32 v7, vcc, v14, v7
	v_addc_co_u32_e32 v7, vcc, v15, v8, vcc
	v_addc_co_u32_e32 v8, vcc, 0, v10, vcc
	v_add_co_u32_e32 v9, vcc, v7, v9
	v_addc_co_u32_e32 v10, vcc, 0, v8, vcc
	v_mul_lo_u32 v14, s47, v9
	v_mul_lo_u32 v15, s46, v10
	v_mad_u64_u32 v[7:8], s[2:3], s46, v9, 0
	v_xor_b32_e32 v1, s44, v1
	v_add3_u32 v8, v8, v15, v14
	v_sub_u32_e32 v14, v13, v8
	v_mov_b32_e32 v15, s47
	v_sub_co_u32_e32 v7, vcc, v12, v7
	v_subb_co_u32_e64 v12, s[2:3], v14, v15, vcc
	v_subrev_co_u32_e64 v14, s[2:3], s46, v7
	v_subbrev_co_u32_e64 v12, s[2:3], 0, v12, s[2:3]
	v_cmp_le_u32_e64 s[2:3], s47, v12
	v_cndmask_b32_e64 v15, 0, -1, s[2:3]
	v_cmp_le_u32_e64 s[2:3], s46, v14
	v_cndmask_b32_e64 v14, 0, -1, s[2:3]
	v_cmp_eq_u32_e64 s[2:3], s47, v12
	v_cndmask_b32_e64 v12, v15, v14, s[2:3]
	v_add_co_u32_e64 v14, s[2:3], 2, v9
	v_subb_co_u32_e32 v8, vcc, v13, v8, vcc
	v_addc_co_u32_e64 v15, s[2:3], 0, v10, s[2:3]
	v_cmp_le_u32_e32 vcc, s47, v8
	v_add_co_u32_e64 v16, s[2:3], 1, v9
	v_cndmask_b32_e64 v13, 0, -1, vcc
	v_cmp_le_u32_e32 vcc, s46, v7
	v_addc_co_u32_e64 v17, s[2:3], 0, v10, s[2:3]
	v_cndmask_b32_e64 v7, 0, -1, vcc
	v_cmp_eq_u32_e32 vcc, s47, v8
	v_cmp_ne_u32_e64 s[2:3], 0, v12
	v_cndmask_b32_e32 v7, v13, v7, vcc
	v_cndmask_b32_e64 v12, v17, v15, s[2:3]
	v_cmp_ne_u32_e32 vcc, 0, v7
	v_cndmask_b32_e64 v8, v16, v14, s[2:3]
	v_cndmask_b32_e32 v7, v10, v12, vcc
	v_cndmask_b32_e32 v8, v9, v8, vcc
	v_xor_b32_e32 v9, v7, v1
	v_xor_b32_e32 v7, v8, v1
	v_sub_co_u32_e32 v7, vcc, v7, v1
	v_subb_co_u32_e32 v8, vcc, v9, v1, vcc
.LBB1_22:
	s_andn2_saveexec_b64 s[2:3], s[42:43]
	s_cbranch_execz .LBB1_24
; %bb.23:
	v_cvt_f32_u32_e32 v1, s16
	s_sub_i32 s24, 0, s16
	v_rcp_iflag_f32_e32 v1, v1
	v_mul_f32_e32 v1, 0x4f7ffffe, v1
	v_cvt_u32_f32_e32 v1, v1
	v_mul_lo_u32 v7, s24, v1
	v_mul_hi_u32 v7, v1, v7
	v_add_u32_e32 v1, v1, v7
	v_mul_hi_u32 v1, v3, v1
	v_mul_lo_u32 v7, v1, s16
	v_add_u32_e32 v8, 1, v1
	v_sub_u32_e32 v7, v3, v7
	v_subrev_u32_e32 v9, s16, v7
	v_cmp_le_u32_e32 vcc, s16, v7
	v_cndmask_b32_e32 v7, v7, v9, vcc
	v_cndmask_b32_e32 v1, v1, v8, vcc
	v_add_u32_e32 v8, 1, v1
	v_cmp_le_u32_e32 vcc, s16, v7
	v_cndmask_b32_e32 v7, v1, v8, vcc
	v_mov_b32_e32 v8, 0
.LBB1_24:
	s_or_b64 exec, exec, s[2:3]
	v_mul_lo_u32 v1, v6, s16
	v_mul_lo_u32 v12, v5, s17
	v_mad_u64_u32 v[9:10], s[2:3], v5, s16, 0
	v_add3_u32 v10, v10, v12, v1
	v_cmp_gt_i64_e32 vcc, v[9:10], v[3:4]
	v_mov_b32_e32 v1, s15
	v_add_co_u32_e64 v9, s[2:3], s14, v9
	v_addc_co_u32_e64 v10, s[2:3], v10, v1, s[2:3]
	v_cmp_ge_i64_e64 s[2:3], v[3:4], v[9:10]
	s_or_b64 s[2:3], vcc, s[2:3]
	v_cndmask_b32_e64 v1, 0, 1, s[2:3]
	v_add_co_u32_e32 v9, vcc, v5, v1
	v_addc_co_u32_e32 v10, vcc, 0, v6, vcc
	v_cmp_gt_i64_e32 vcc, s[4:5], v[7:8]
	v_mov_b32_e32 v1, s5
	v_cndmask_b32_e32 v6, v1, v8, vcc
	v_mov_b32_e32 v1, s4
	v_cndmask_b32_e32 v5, v1, v7, vcc
	v_cmp_le_i64_e32 vcc, v[9:10], v[5:6]
	s_and_saveexec_b64 s[42:43], vcc
	s_cbranch_execz .LBB1_27
; %bb.25:
	global_load_ubyte v12, v2, s[8:9]
	v_mul_lo_u32 v14, s17, v9
	v_mul_lo_u32 v15, s16, v10
	v_mad_u64_u32 v[7:8], s[2:3], s16, v9, 0
	v_mov_b32_e32 v13, s9
	v_add_co_u32_e32 v1, vcc, s8, v2
	v_addc_co_u32_e32 v2, vcc, 0, v13, vcc
	v_add3_u32 v8, v8, v15, v14
	v_mul_lo_u32 v15, s21, v9
	v_mul_lo_u32 v16, s20, v10
	v_mad_u64_u32 v[13:14], s[2:3], s20, v9, 0
	v_sub_co_u32_e32 v3, vcc, v3, v7
	v_subb_co_u32_e32 v4, vcc, v4, v8, vcc
	v_add3_u32 v14, v14, v16, v15
	v_mad_u64_u32 v[7:8], s[2:3], s22, v3, v[13:14]
	v_mul_lo_u32 v13, s22, v4
	v_mul_lo_u32 v14, s23, v3
	v_add_co_u32_e32 v3, vcc, -1, v9
	v_addc_co_u32_e32 v4, vcc, -1, v10, vcc
	s_mul_i32 s2, s16, s23
	s_mul_hi_u32 s3, s16, s22
	v_add3_u32 v8, v14, v8, v13
	v_add_co_u32_e32 v0, vcc, v7, v0
	s_add_i32 s2, s3, s2
	s_mul_i32 s3, s17, s22
	v_addc_co_u32_e32 v8, vcc, 0, v8, vcc
	s_add_i32 s2, s2, s3
	s_mul_i32 s3, s16, s22
	v_mov_b32_e32 v9, s11
	v_add_co_u32_e32 v7, vcc, s10, v0
	s_sub_u32 s24, s20, s3
	v_addc_co_u32_e32 v8, vcc, v9, v8, vcc
	s_subb_u32 s46, s21, s2
	s_mov_b64 s[44:45], 0
.LBB1_26:                               ; =>This Inner Loop Header: Depth=1
	global_load_ubyte v0, v[7:8], off
	v_add_co_u32_e32 v3, vcc, 1, v3
	v_addc_co_u32_e32 v4, vcc, 0, v4, vcc
	v_cmp_ge_i64_e64 s[2:3], v[3:4], v[5:6]
	v_mov_b32_e32 v9, s46
	v_add_co_u32_e32 v7, vcc, s24, v7
	v_addc_co_u32_e32 v8, vcc, v8, v9, vcc
	s_or_b64 s[44:45], s[2:3], s[44:45]
	s_waitcnt vmcnt(0)
	v_add_u16_e32 v12, v0, v12
	global_store_byte v[1:2], v12, off
	s_andn2_b64 exec, exec, s[44:45]
	s_cbranch_execnz .LBB1_26
.LBB1_27:
	s_or_b64 exec, exec, s[42:43]
	v_add_u32_e32 v11, 0x100, v11
	s_or_b64 exec, exec, s[18:19]
	v_cmp_gt_i32_e32 vcc, s51, v11
	s_and_saveexec_b64 s[18:19], vcc
	s_cbranch_execz .LBB1_2
.LBB1_28:
	s_and_b64 vcc, exec, s[0:1]
	s_cbranch_vccnz .LBB1_35
; %bb.29:
	v_mov_b32_e32 v2, 0
	s_andn2_b64 vcc, exec, s[40:41]
	v_mov_b32_e32 v0, 0
	v_mov_b32_e32 v4, 0
	s_cbranch_vccnz .LBB1_34
; %bb.30:
	s_add_i32 s2, s31, 1
	s_and_b32 s24, s2, 30
	s_add_u32 s2, s33, 0xffffffe8
	s_addc_u32 s3, s50, -1
	v_mov_b32_e32 v4, 0
	v_mov_b32_e32 v0, 0
	;; [unrolled: 1-line block ×4, first 2 shown]
.LBB1_31:                               ; =>This Inner Loop Header: Depth=1
	s_load_dwordx4 s[44:47], s[2:3], 0x1c
	s_load_dwordx2 s[42:43], s[2:3], 0x2c
	s_load_dwordx2 s[48:49], s[2:3], 0xec
	s_load_dwordx4 s[52:55], s[2:3], 0xdc
	s_add_u32 s2, s2, 24
	s_waitcnt lgkmcnt(0)
	v_mul_hi_u32 v3, s45, v1
	s_addc_u32 s3, s3, 0
	s_add_i32 s24, s24, -2
	s_cmp_eq_u32 s24, 0
	v_add_u32_e32 v3, v1, v3
	v_lshrrev_b32_e32 v3, s46, v3
	v_mul_lo_u32 v5, v3, s44
	v_mul_hi_u32 v6, s42, v3
	v_sub_u32_e32 v5, v1, v5
	v_add_u32_e32 v1, v3, v6
	v_lshrrev_b32_e32 v1, s43, v1
	v_mul_lo_u32 v8, v1, s47
	v_mul_lo_u32 v6, v5, s52
	;; [unrolled: 1-line block ×4, first 2 shown]
	v_sub_u32_e32 v3, v3, v8
	v_mul_lo_u32 v8, v3, s55
	v_mul_lo_u32 v9, v3, s48
	;; [unrolled: 1-line block ×3, first 2 shown]
	v_add3_u32 v2, v6, v2, v8
	v_add3_u32 v0, v7, v0, v9
	;; [unrolled: 1-line block ×3, first 2 shown]
	s_cbranch_scc0 .LBB1_31
; %bb.32:
	s_bitcmp1_b32 s31, 0
	s_cselect_b64 s[42:43], -1, 0
	s_and_b64 vcc, exec, s[42:43]
	s_cbranch_vccnz .LBB1_34
; %bb.33:
	s_load_dwordx2 s[42:43], s[2:3], 0x1c
	s_load_dword s24, s[2:3], 0x24
	s_load_dwordx2 s[44:45], s[2:3], 0xdc
	s_waitcnt lgkmcnt(0)
	v_mul_hi_u32 v3, s43, v1
	v_add_u32_e32 v3, v1, v3
	v_lshrrev_b32_e32 v3, s24, v3
	v_mul_lo_u32 v3, v3, s42
	s_load_dword s24, s[2:3], 0xe4
	v_sub_u32_e32 v5, v1, v3
	v_mad_u64_u32 v[2:3], s[2:3], v5, s44, v[2:3]
	v_mad_u64_u32 v[0:1], s[2:3], v5, s45, v[0:1]
	s_waitcnt lgkmcnt(0)
	v_mad_u64_u32 v[4:5], s[2:3], v5, s24, v[4:5]
.LBB1_34:
	s_cbranch_execz .LBB1_36
	s_branch .LBB1_38
.LBB1_35:
                                        ; implicit-def: $vgpr2
                                        ; implicit-def: $vgpr0
                                        ; implicit-def: $vgpr4
.LBB1_36:
	v_mul_hi_u32 v0, s26, v11
	s_andn2_b64 vcc, exec, s[34:35]
	v_add_u32_e32 v0, v11, v0
	v_lshrrev_b32_e32 v1, s27, v0
	v_mul_lo_u32 v0, v1, s25
	v_sub_u32_e32 v3, v11, v0
	v_mul_lo_u32 v2, v3, s36
	v_mul_lo_u32 v0, v3, s37
	;; [unrolled: 1-line block ×3, first 2 shown]
	s_cbranch_vccnz .LBB1_38
; %bb.37:
	v_mul_hi_u32 v3, s29, v1
	v_add_u32_e32 v3, v1, v3
	v_lshrrev_b32_e32 v3, s30, v3
	v_mul_lo_u32 v3, v3, s28
	v_sub_u32_e32 v5, v1, v3
	v_mad_u64_u32 v[2:3], s[2:3], v5, s39, v[2:3]
	v_mad_u64_u32 v[0:1], s[2:3], v5, s6, v[0:1]
	;; [unrolled: 1-line block ×3, first 2 shown]
.LBB1_38:
	global_load_dwordx2 v[3:4], v4, s[12:13]
	v_mov_b32_e32 v5, 0
	v_mov_b32_e32 v6, 0
	s_waitcnt vmcnt(0)
	v_cmp_lt_i64_e32 vcc, s[14:15], v[3:4]
	s_and_saveexec_b64 s[42:43], vcc
	s_cbranch_execz .LBB1_44
; %bb.39:
	v_mov_b32_e32 v5, s15
	v_subrev_co_u32_e32 v1, vcc, s14, v3
	v_subb_co_u32_e32 v7, vcc, v4, v5, vcc
	v_or_b32_e32 v6, s17, v7
	v_mov_b32_e32 v5, 0
	v_cmp_ne_u64_e32 vcc, 0, v[5:6]
                                        ; implicit-def: $vgpr5_vgpr6
	s_and_saveexec_b64 s[2:3], vcc
	s_xor_b64 s[44:45], exec, s[2:3]
	s_cbranch_execz .LBB1_41
; %bb.40:
	s_ashr_i32 s46, s17, 31
	s_add_u32 s2, s16, s46
	s_mov_b32 s47, s46
	s_addc_u32 s3, s17, s46
	s_xor_b64 s[48:49], s[2:3], s[46:47]
	v_cvt_f32_u32_e32 v5, s48
	v_cvt_f32_u32_e32 v6, s49
	s_sub_u32 s24, 0, s48
	s_subb_u32 s47, 0, s49
	v_ashrrev_i32_e32 v9, 31, v7
	v_madmk_f32 v5, v6, 0x4f800000, v5
	v_rcp_f32_e32 v5, v5
	v_add_co_u32_e32 v1, vcc, v1, v9
	v_xor_b32_e32 v1, v1, v9
	v_mul_f32_e32 v5, 0x5f7ffffc, v5
	v_mul_f32_e32 v6, 0x2f800000, v5
	v_trunc_f32_e32 v6, v6
	v_madmk_f32 v5, v6, 0xcf800000, v5
	v_cvt_u32_f32_e32 v6, v6
	v_cvt_u32_f32_e32 v5, v5
	v_addc_co_u32_e32 v7, vcc, v7, v9, vcc
	v_readfirstlane_b32 s52, v6
	v_readfirstlane_b32 s2, v5
	s_mul_i32 s3, s24, s52
	s_mul_hi_u32 s54, s24, s2
	s_mul_i32 s53, s47, s2
	s_add_i32 s3, s54, s3
	s_add_i32 s3, s3, s53
	s_mul_i32 s55, s24, s2
	s_mul_i32 s54, s2, s3
	s_mul_hi_u32 s56, s2, s55
	s_mul_hi_u32 s53, s2, s3
	s_add_u32 s54, s56, s54
	s_addc_u32 s53, 0, s53
	s_mul_hi_u32 s57, s52, s55
	s_mul_i32 s55, s52, s55
	s_add_u32 s54, s54, s55
	s_mul_hi_u32 s56, s52, s3
	s_addc_u32 s53, s53, s57
	s_addc_u32 s54, s56, 0
	s_mul_i32 s3, s52, s3
	s_add_u32 s3, s53, s3
	s_addc_u32 s53, 0, s54
	s_add_u32 s54, s2, s3
	s_cselect_b64 s[2:3], -1, 0
	s_cmp_lg_u64 s[2:3], 0
	s_addc_u32 s52, s52, s53
	s_mul_i32 s2, s24, s52
	s_mul_hi_u32 s3, s24, s54
	s_add_i32 s2, s3, s2
	s_mul_i32 s47, s47, s54
	s_add_i32 s2, s2, s47
	s_mul_i32 s24, s24, s54
	s_mul_hi_u32 s47, s52, s24
	s_mul_i32 s53, s52, s24
	s_mul_i32 s56, s54, s2
	s_mul_hi_u32 s24, s54, s24
	s_mul_hi_u32 s55, s54, s2
	s_add_u32 s24, s24, s56
	s_addc_u32 s55, 0, s55
	s_add_u32 s24, s24, s53
	s_mul_hi_u32 s3, s52, s2
	s_addc_u32 s24, s55, s47
	s_addc_u32 s3, s3, 0
	s_mul_i32 s2, s52, s2
	s_add_u32 s2, s24, s2
	s_addc_u32 s24, 0, s3
	s_add_u32 s47, s54, s2
	s_cselect_b64 s[2:3], -1, 0
	s_cmp_lg_u64 s[2:3], 0
	s_addc_u32 s24, s52, s24
	v_mad_u64_u32 v[5:6], s[2:3], v1, s24, 0
	v_mul_hi_u32 v8, v1, s47
	v_xor_b32_e32 v10, v7, v9
	v_add_co_u32_e32 v12, vcc, v8, v5
	v_addc_co_u32_e32 v13, vcc, 0, v6, vcc
	v_mad_u64_u32 v[5:6], s[2:3], v10, s47, 0
	v_mad_u64_u32 v[7:8], s[2:3], v10, s24, 0
	v_add_co_u32_e32 v5, vcc, v12, v5
	v_addc_co_u32_e32 v5, vcc, v13, v6, vcc
	v_addc_co_u32_e32 v6, vcc, 0, v8, vcc
	v_add_co_u32_e32 v7, vcc, v5, v7
	v_addc_co_u32_e32 v8, vcc, 0, v6, vcc
	v_mul_lo_u32 v12, s49, v7
	v_mul_lo_u32 v13, s48, v8
	v_mad_u64_u32 v[5:6], s[2:3], s48, v7, 0
	v_add3_u32 v6, v6, v13, v12
	v_sub_u32_e32 v12, v10, v6
	v_mov_b32_e32 v13, s49
	v_sub_co_u32_e32 v1, vcc, v1, v5
	v_subb_co_u32_e64 v5, s[2:3], v12, v13, vcc
	v_subrev_co_u32_e64 v12, s[2:3], s48, v1
	v_subbrev_co_u32_e64 v5, s[2:3], 0, v5, s[2:3]
	v_cmp_le_u32_e64 s[2:3], s49, v5
	v_cndmask_b32_e64 v13, 0, -1, s[2:3]
	v_cmp_le_u32_e64 s[2:3], s48, v12
	v_cndmask_b32_e64 v12, 0, -1, s[2:3]
	v_cmp_eq_u32_e64 s[2:3], s49, v5
	v_cndmask_b32_e64 v5, v13, v12, s[2:3]
	v_add_co_u32_e64 v12, s[2:3], 2, v7
	v_subb_co_u32_e32 v6, vcc, v10, v6, vcc
	v_addc_co_u32_e64 v13, s[2:3], 0, v8, s[2:3]
	v_cmp_le_u32_e32 vcc, s49, v6
	v_add_co_u32_e64 v14, s[2:3], 1, v7
	v_cndmask_b32_e64 v10, 0, -1, vcc
	v_cmp_le_u32_e32 vcc, s48, v1
	v_addc_co_u32_e64 v15, s[2:3], 0, v8, s[2:3]
	v_cndmask_b32_e64 v1, 0, -1, vcc
	v_cmp_eq_u32_e32 vcc, s49, v6
	v_cmp_ne_u32_e64 s[2:3], 0, v5
	v_cndmask_b32_e32 v1, v10, v1, vcc
	v_cndmask_b32_e64 v5, v15, v13, s[2:3]
	v_cmp_ne_u32_e32 vcc, 0, v1
	v_cndmask_b32_e32 v1, v8, v5, vcc
	v_cndmask_b32_e64 v5, v14, v12, s[2:3]
	v_cndmask_b32_e32 v5, v7, v5, vcc
	v_xor_b32_e32 v6, s46, v9
	v_xor_b32_e32 v5, v5, v6
	;; [unrolled: 1-line block ×3, first 2 shown]
	v_sub_co_u32_e32 v5, vcc, v5, v6
	v_subb_co_u32_e32 v6, vcc, v1, v6, vcc
                                        ; implicit-def: $vgpr1
.LBB1_41:
	s_andn2_saveexec_b64 s[2:3], s[44:45]
	s_cbranch_execz .LBB1_43
; %bb.42:
	v_cvt_f32_u32_e32 v5, s16
	s_sub_i32 s24, 0, s16
	v_rcp_iflag_f32_e32 v5, v5
	v_mul_f32_e32 v5, 0x4f7ffffe, v5
	v_cvt_u32_f32_e32 v5, v5
	v_mul_lo_u32 v6, s24, v5
	v_mul_hi_u32 v6, v5, v6
	v_add_u32_e32 v5, v5, v6
	v_mul_hi_u32 v5, v1, v5
	v_mul_lo_u32 v6, v5, s16
	v_add_u32_e32 v7, 1, v5
	v_sub_u32_e32 v1, v1, v6
	v_subrev_u32_e32 v6, s16, v1
	v_cmp_le_u32_e32 vcc, s16, v1
	v_cndmask_b32_e32 v1, v1, v6, vcc
	v_cndmask_b32_e32 v5, v5, v7, vcc
	v_add_u32_e32 v6, 1, v5
	v_cmp_le_u32_e32 vcc, s16, v1
	v_cndmask_b32_e32 v5, v5, v6, vcc
	v_mov_b32_e32 v6, 0
.LBB1_43:
	s_or_b64 exec, exec, s[2:3]
.LBB1_44:
	s_or_b64 exec, exec, s[42:43]
	v_or_b32_e32 v8, s17, v4
	v_mov_b32_e32 v7, 0
	v_cmp_ne_u64_e32 vcc, 0, v[7:8]
                                        ; implicit-def: $vgpr7_vgpr8
	s_and_saveexec_b64 s[2:3], vcc
	s_xor_b64 s[42:43], exec, s[2:3]
	s_cbranch_execz .LBB1_46
; %bb.45:
	s_ashr_i32 s44, s17, 31
	s_add_u32 s2, s16, s44
	s_mov_b32 s45, s44
	s_addc_u32 s3, s17, s44
	s_xor_b64 s[46:47], s[2:3], s[44:45]
	v_cvt_f32_u32_e32 v1, s46
	v_cvt_f32_u32_e32 v7, s47
	s_sub_u32 s24, 0, s46
	s_subb_u32 s45, 0, s47
	v_madmk_f32 v1, v7, 0x4f800000, v1
	v_rcp_f32_e32 v1, v1
	v_mul_f32_e32 v1, 0x5f7ffffc, v1
	v_mul_f32_e32 v7, 0x2f800000, v1
	v_trunc_f32_e32 v7, v7
	v_madmk_f32 v1, v7, 0xcf800000, v1
	v_cvt_u32_f32_e32 v7, v7
	v_cvt_u32_f32_e32 v1, v1
	v_readfirstlane_b32 s48, v7
	v_readfirstlane_b32 s2, v1
	s_mul_i32 s3, s24, s48
	s_mul_hi_u32 s52, s24, s2
	s_mul_i32 s49, s45, s2
	s_add_i32 s3, s52, s3
	s_add_i32 s3, s3, s49
	s_mul_i32 s53, s24, s2
	s_mul_i32 s52, s2, s3
	s_mul_hi_u32 s54, s2, s53
	s_mul_hi_u32 s49, s2, s3
	s_add_u32 s52, s54, s52
	s_addc_u32 s49, 0, s49
	s_mul_hi_u32 s55, s48, s53
	s_mul_i32 s53, s48, s53
	s_add_u32 s52, s52, s53
	s_mul_hi_u32 s54, s48, s3
	s_addc_u32 s49, s49, s55
	s_addc_u32 s52, s54, 0
	s_mul_i32 s3, s48, s3
	s_add_u32 s3, s49, s3
	s_addc_u32 s49, 0, s52
	s_add_u32 s52, s2, s3
	s_cselect_b64 s[2:3], -1, 0
	s_cmp_lg_u64 s[2:3], 0
	s_addc_u32 s48, s48, s49
	s_mul_i32 s2, s24, s48
	s_mul_hi_u32 s3, s24, s52
	s_add_i32 s2, s3, s2
	s_mul_i32 s45, s45, s52
	s_add_i32 s2, s2, s45
	s_mul_i32 s24, s24, s52
	s_mul_hi_u32 s45, s48, s24
	s_mul_i32 s49, s48, s24
	s_mul_i32 s54, s52, s2
	s_mul_hi_u32 s24, s52, s24
	s_mul_hi_u32 s53, s52, s2
	s_add_u32 s24, s24, s54
	s_addc_u32 s53, 0, s53
	s_add_u32 s24, s24, s49
	s_mul_hi_u32 s3, s48, s2
	s_addc_u32 s24, s53, s45
	s_addc_u32 s3, s3, 0
	s_mul_i32 s2, s48, s2
	s_add_u32 s2, s24, s2
	s_addc_u32 s24, 0, s3
	s_add_u32 s45, s52, s2
	s_cselect_b64 s[2:3], -1, 0
	v_ashrrev_i32_e32 v1, 31, v4
	s_cmp_lg_u64 s[2:3], 0
	v_add_co_u32_e32 v7, vcc, v3, v1
	s_addc_u32 s24, s48, s24
	v_xor_b32_e32 v12, v7, v1
	v_mad_u64_u32 v[7:8], s[2:3], v12, s24, 0
	v_mul_hi_u32 v10, v12, s45
	v_addc_co_u32_e32 v9, vcc, v4, v1, vcc
	v_xor_b32_e32 v13, v9, v1
	v_add_co_u32_e32 v14, vcc, v10, v7
	v_addc_co_u32_e32 v15, vcc, 0, v8, vcc
	v_mad_u64_u32 v[7:8], s[2:3], v13, s45, 0
	v_mad_u64_u32 v[9:10], s[2:3], v13, s24, 0
	v_add_co_u32_e32 v7, vcc, v14, v7
	v_addc_co_u32_e32 v7, vcc, v15, v8, vcc
	v_addc_co_u32_e32 v8, vcc, 0, v10, vcc
	v_add_co_u32_e32 v9, vcc, v7, v9
	v_addc_co_u32_e32 v10, vcc, 0, v8, vcc
	v_mul_lo_u32 v14, s47, v9
	v_mul_lo_u32 v15, s46, v10
	v_mad_u64_u32 v[7:8], s[2:3], s46, v9, 0
	v_xor_b32_e32 v1, s44, v1
	v_add3_u32 v8, v8, v15, v14
	v_sub_u32_e32 v14, v13, v8
	v_mov_b32_e32 v15, s47
	v_sub_co_u32_e32 v7, vcc, v12, v7
	v_subb_co_u32_e64 v12, s[2:3], v14, v15, vcc
	v_subrev_co_u32_e64 v14, s[2:3], s46, v7
	v_subbrev_co_u32_e64 v12, s[2:3], 0, v12, s[2:3]
	v_cmp_le_u32_e64 s[2:3], s47, v12
	v_cndmask_b32_e64 v15, 0, -1, s[2:3]
	v_cmp_le_u32_e64 s[2:3], s46, v14
	v_cndmask_b32_e64 v14, 0, -1, s[2:3]
	v_cmp_eq_u32_e64 s[2:3], s47, v12
	v_cndmask_b32_e64 v12, v15, v14, s[2:3]
	v_add_co_u32_e64 v14, s[2:3], 2, v9
	v_subb_co_u32_e32 v8, vcc, v13, v8, vcc
	v_addc_co_u32_e64 v15, s[2:3], 0, v10, s[2:3]
	v_cmp_le_u32_e32 vcc, s47, v8
	v_add_co_u32_e64 v16, s[2:3], 1, v9
	v_cndmask_b32_e64 v13, 0, -1, vcc
	v_cmp_le_u32_e32 vcc, s46, v7
	v_addc_co_u32_e64 v17, s[2:3], 0, v10, s[2:3]
	v_cndmask_b32_e64 v7, 0, -1, vcc
	v_cmp_eq_u32_e32 vcc, s47, v8
	v_cmp_ne_u32_e64 s[2:3], 0, v12
	v_cndmask_b32_e32 v7, v13, v7, vcc
	v_cndmask_b32_e64 v12, v17, v15, s[2:3]
	v_cmp_ne_u32_e32 vcc, 0, v7
	v_cndmask_b32_e64 v8, v16, v14, s[2:3]
	v_cndmask_b32_e32 v7, v10, v12, vcc
	v_cndmask_b32_e32 v8, v9, v8, vcc
	v_xor_b32_e32 v9, v7, v1
	v_xor_b32_e32 v7, v8, v1
	v_sub_co_u32_e32 v7, vcc, v7, v1
	v_subb_co_u32_e32 v8, vcc, v9, v1, vcc
.LBB1_46:
	s_andn2_saveexec_b64 s[2:3], s[42:43]
	s_cbranch_execz .LBB1_48
; %bb.47:
	v_cvt_f32_u32_e32 v1, s16
	s_sub_i32 s24, 0, s16
	v_rcp_iflag_f32_e32 v1, v1
	v_mul_f32_e32 v1, 0x4f7ffffe, v1
	v_cvt_u32_f32_e32 v1, v1
	v_mul_lo_u32 v7, s24, v1
	v_mul_hi_u32 v7, v1, v7
	v_add_u32_e32 v1, v1, v7
	v_mul_hi_u32 v1, v3, v1
	v_mul_lo_u32 v7, v1, s16
	v_add_u32_e32 v8, 1, v1
	v_sub_u32_e32 v7, v3, v7
	v_subrev_u32_e32 v9, s16, v7
	v_cmp_le_u32_e32 vcc, s16, v7
	v_cndmask_b32_e32 v7, v7, v9, vcc
	v_cndmask_b32_e32 v1, v1, v8, vcc
	v_add_u32_e32 v8, 1, v1
	v_cmp_le_u32_e32 vcc, s16, v7
	v_cndmask_b32_e32 v7, v1, v8, vcc
	v_mov_b32_e32 v8, 0
.LBB1_48:
	s_or_b64 exec, exec, s[2:3]
	v_mul_lo_u32 v1, v6, s16
	v_mul_lo_u32 v12, v5, s17
	v_mad_u64_u32 v[9:10], s[2:3], v5, s16, 0
	v_add3_u32 v10, v10, v12, v1
	v_cmp_gt_i64_e32 vcc, v[9:10], v[3:4]
	v_mov_b32_e32 v1, s15
	v_add_co_u32_e64 v9, s[2:3], s14, v9
	v_addc_co_u32_e64 v10, s[2:3], v10, v1, s[2:3]
	v_cmp_ge_i64_e64 s[2:3], v[3:4], v[9:10]
	s_or_b64 s[2:3], vcc, s[2:3]
	v_cndmask_b32_e64 v1, 0, 1, s[2:3]
	v_add_co_u32_e32 v9, vcc, v5, v1
	v_addc_co_u32_e32 v10, vcc, 0, v6, vcc
	v_cmp_gt_i64_e32 vcc, s[4:5], v[7:8]
	v_mov_b32_e32 v1, s5
	v_cndmask_b32_e32 v6, v1, v8, vcc
	v_mov_b32_e32 v1, s4
	v_cndmask_b32_e32 v5, v1, v7, vcc
	v_cmp_le_i64_e32 vcc, v[9:10], v[5:6]
	s_and_saveexec_b64 s[42:43], vcc
	s_cbranch_execz .LBB1_51
; %bb.49:
	global_load_ubyte v12, v2, s[8:9]
	v_mul_lo_u32 v14, s17, v9
	v_mul_lo_u32 v15, s16, v10
	v_mad_u64_u32 v[7:8], s[2:3], s16, v9, 0
	v_mov_b32_e32 v13, s9
	v_add_co_u32_e32 v1, vcc, s8, v2
	v_addc_co_u32_e32 v2, vcc, 0, v13, vcc
	v_add3_u32 v8, v8, v15, v14
	v_mul_lo_u32 v15, s21, v9
	v_mul_lo_u32 v16, s20, v10
	v_mad_u64_u32 v[13:14], s[2:3], s20, v9, 0
	v_sub_co_u32_e32 v3, vcc, v3, v7
	v_subb_co_u32_e32 v4, vcc, v4, v8, vcc
	v_add3_u32 v14, v14, v16, v15
	v_mad_u64_u32 v[7:8], s[2:3], s22, v3, v[13:14]
	v_mul_lo_u32 v13, s22, v4
	v_mul_lo_u32 v14, s23, v3
	v_add_co_u32_e32 v3, vcc, -1, v9
	v_addc_co_u32_e32 v4, vcc, -1, v10, vcc
	s_mul_i32 s2, s16, s23
	s_mul_hi_u32 s3, s16, s22
	v_add3_u32 v8, v14, v8, v13
	v_add_co_u32_e32 v0, vcc, v7, v0
	s_add_i32 s2, s3, s2
	s_mul_i32 s3, s17, s22
	v_addc_co_u32_e32 v8, vcc, 0, v8, vcc
	s_add_i32 s2, s2, s3
	s_mul_i32 s3, s16, s22
	v_mov_b32_e32 v9, s11
	v_add_co_u32_e32 v7, vcc, s10, v0
	s_sub_u32 s24, s20, s3
	v_addc_co_u32_e32 v8, vcc, v9, v8, vcc
	s_subb_u32 s46, s21, s2
	s_mov_b64 s[44:45], 0
.LBB1_50:                               ; =>This Inner Loop Header: Depth=1
	global_load_ubyte v0, v[7:8], off
	v_add_co_u32_e32 v3, vcc, 1, v3
	v_addc_co_u32_e32 v4, vcc, 0, v4, vcc
	v_cmp_ge_i64_e64 s[2:3], v[3:4], v[5:6]
	v_mov_b32_e32 v9, s46
	v_add_co_u32_e32 v7, vcc, s24, v7
	v_addc_co_u32_e32 v8, vcc, v8, v9, vcc
	s_or_b64 s[44:45], s[2:3], s[44:45]
	s_waitcnt vmcnt(0)
	v_add_u16_e32 v12, v0, v12
	global_store_byte v[1:2], v12, off
	s_andn2_b64 exec, exec, s[44:45]
	s_cbranch_execnz .LBB1_50
.LBB1_51:
	s_or_b64 exec, exec, s[42:43]
	v_add_u32_e32 v11, 0x100, v11
	s_or_b64 exec, exec, s[18:19]
	v_cmp_gt_i32_e32 vcc, s51, v11
	s_and_saveexec_b64 s[18:19], vcc
	s_cbranch_execz .LBB1_3
.LBB1_52:
	s_and_b64 vcc, exec, s[0:1]
	s_cbranch_vccnz .LBB1_59
; %bb.53:
	v_mov_b32_e32 v2, 0
	s_andn2_b64 vcc, exec, s[40:41]
	v_mov_b32_e32 v0, 0
	v_mov_b32_e32 v4, 0
	s_cbranch_vccnz .LBB1_58
; %bb.54:
	s_add_i32 s2, s31, 1
	s_and_b32 s24, s2, 30
	s_add_u32 s2, s33, 0xffffffe8
	s_addc_u32 s3, s50, -1
	v_mov_b32_e32 v4, 0
	v_mov_b32_e32 v0, 0
	;; [unrolled: 1-line block ×4, first 2 shown]
.LBB1_55:                               ; =>This Inner Loop Header: Depth=1
	s_load_dwordx4 s[44:47], s[2:3], 0x1c
	s_load_dwordx2 s[42:43], s[2:3], 0x2c
	s_load_dwordx2 s[48:49], s[2:3], 0xec
	s_load_dwordx4 s[52:55], s[2:3], 0xdc
	s_add_u32 s2, s2, 24
	s_waitcnt lgkmcnt(0)
	v_mul_hi_u32 v3, s45, v1
	s_addc_u32 s3, s3, 0
	s_add_i32 s24, s24, -2
	s_cmp_eq_u32 s24, 0
	v_add_u32_e32 v3, v1, v3
	v_lshrrev_b32_e32 v3, s46, v3
	v_mul_lo_u32 v5, v3, s44
	v_mul_hi_u32 v6, s42, v3
	v_sub_u32_e32 v5, v1, v5
	v_add_u32_e32 v1, v3, v6
	v_lshrrev_b32_e32 v1, s43, v1
	v_mul_lo_u32 v8, v1, s47
	v_mul_lo_u32 v6, v5, s52
	;; [unrolled: 1-line block ×4, first 2 shown]
	v_sub_u32_e32 v3, v3, v8
	v_mul_lo_u32 v8, v3, s55
	v_mul_lo_u32 v9, v3, s48
	;; [unrolled: 1-line block ×3, first 2 shown]
	v_add3_u32 v2, v6, v2, v8
	v_add3_u32 v0, v7, v0, v9
	;; [unrolled: 1-line block ×3, first 2 shown]
	s_cbranch_scc0 .LBB1_55
; %bb.56:
	s_bitcmp1_b32 s31, 0
	s_cselect_b64 s[42:43], -1, 0
	s_and_b64 vcc, exec, s[42:43]
	s_cbranch_vccnz .LBB1_58
; %bb.57:
	s_load_dwordx2 s[42:43], s[2:3], 0x1c
	s_load_dword s24, s[2:3], 0x24
	s_load_dwordx2 s[44:45], s[2:3], 0xdc
	s_waitcnt lgkmcnt(0)
	v_mul_hi_u32 v3, s43, v1
	v_add_u32_e32 v3, v1, v3
	v_lshrrev_b32_e32 v3, s24, v3
	v_mul_lo_u32 v3, v3, s42
	s_load_dword s24, s[2:3], 0xe4
	v_sub_u32_e32 v5, v1, v3
	v_mad_u64_u32 v[2:3], s[2:3], v5, s44, v[2:3]
	v_mad_u64_u32 v[0:1], s[2:3], v5, s45, v[0:1]
	s_waitcnt lgkmcnt(0)
	v_mad_u64_u32 v[4:5], s[2:3], v5, s24, v[4:5]
.LBB1_58:
	s_cbranch_execz .LBB1_60
	s_branch .LBB1_62
.LBB1_59:
                                        ; implicit-def: $vgpr2
                                        ; implicit-def: $vgpr0
                                        ; implicit-def: $vgpr4
.LBB1_60:
	v_mul_hi_u32 v0, s26, v11
	s_andn2_b64 vcc, exec, s[34:35]
	v_add_u32_e32 v0, v11, v0
	v_lshrrev_b32_e32 v1, s27, v0
	v_mul_lo_u32 v0, v1, s25
	v_sub_u32_e32 v3, v11, v0
	v_mul_lo_u32 v2, v3, s36
	v_mul_lo_u32 v0, v3, s37
	;; [unrolled: 1-line block ×3, first 2 shown]
	s_cbranch_vccnz .LBB1_62
; %bb.61:
	v_mul_hi_u32 v3, s29, v1
	v_add_u32_e32 v3, v1, v3
	v_lshrrev_b32_e32 v3, s30, v3
	v_mul_lo_u32 v3, v3, s28
	v_sub_u32_e32 v5, v1, v3
	v_mad_u64_u32 v[2:3], s[2:3], v5, s39, v[2:3]
	v_mad_u64_u32 v[0:1], s[2:3], v5, s6, v[0:1]
	;; [unrolled: 1-line block ×3, first 2 shown]
.LBB1_62:
	global_load_dwordx2 v[3:4], v4, s[12:13]
	v_mov_b32_e32 v5, 0
	v_mov_b32_e32 v6, 0
	s_waitcnt vmcnt(0)
	v_cmp_lt_i64_e32 vcc, s[14:15], v[3:4]
	s_and_saveexec_b64 s[42:43], vcc
	s_cbranch_execz .LBB1_68
; %bb.63:
	v_mov_b32_e32 v5, s15
	v_subrev_co_u32_e32 v1, vcc, s14, v3
	v_subb_co_u32_e32 v7, vcc, v4, v5, vcc
	v_or_b32_e32 v6, s17, v7
	v_mov_b32_e32 v5, 0
	v_cmp_ne_u64_e32 vcc, 0, v[5:6]
                                        ; implicit-def: $vgpr5_vgpr6
	s_and_saveexec_b64 s[2:3], vcc
	s_xor_b64 s[44:45], exec, s[2:3]
	s_cbranch_execz .LBB1_65
; %bb.64:
	s_ashr_i32 s46, s17, 31
	s_add_u32 s2, s16, s46
	s_mov_b32 s47, s46
	s_addc_u32 s3, s17, s46
	s_xor_b64 s[48:49], s[2:3], s[46:47]
	v_cvt_f32_u32_e32 v5, s48
	v_cvt_f32_u32_e32 v6, s49
	s_sub_u32 s24, 0, s48
	s_subb_u32 s47, 0, s49
	v_ashrrev_i32_e32 v9, 31, v7
	v_madmk_f32 v5, v6, 0x4f800000, v5
	v_rcp_f32_e32 v5, v5
	v_add_co_u32_e32 v1, vcc, v1, v9
	v_xor_b32_e32 v1, v1, v9
	v_mul_f32_e32 v5, 0x5f7ffffc, v5
	v_mul_f32_e32 v6, 0x2f800000, v5
	v_trunc_f32_e32 v6, v6
	v_madmk_f32 v5, v6, 0xcf800000, v5
	v_cvt_u32_f32_e32 v6, v6
	v_cvt_u32_f32_e32 v5, v5
	v_addc_co_u32_e32 v7, vcc, v7, v9, vcc
	v_readfirstlane_b32 s52, v6
	v_readfirstlane_b32 s2, v5
	s_mul_i32 s3, s24, s52
	s_mul_hi_u32 s54, s24, s2
	s_mul_i32 s53, s47, s2
	s_add_i32 s3, s54, s3
	s_add_i32 s3, s3, s53
	s_mul_i32 s55, s24, s2
	s_mul_i32 s54, s2, s3
	s_mul_hi_u32 s56, s2, s55
	s_mul_hi_u32 s53, s2, s3
	s_add_u32 s54, s56, s54
	s_addc_u32 s53, 0, s53
	s_mul_hi_u32 s57, s52, s55
	s_mul_i32 s55, s52, s55
	s_add_u32 s54, s54, s55
	s_mul_hi_u32 s56, s52, s3
	s_addc_u32 s53, s53, s57
	s_addc_u32 s54, s56, 0
	s_mul_i32 s3, s52, s3
	s_add_u32 s3, s53, s3
	s_addc_u32 s53, 0, s54
	s_add_u32 s54, s2, s3
	s_cselect_b64 s[2:3], -1, 0
	s_cmp_lg_u64 s[2:3], 0
	s_addc_u32 s52, s52, s53
	s_mul_i32 s2, s24, s52
	s_mul_hi_u32 s3, s24, s54
	s_add_i32 s2, s3, s2
	s_mul_i32 s47, s47, s54
	s_add_i32 s2, s2, s47
	s_mul_i32 s24, s24, s54
	s_mul_hi_u32 s47, s52, s24
	s_mul_i32 s53, s52, s24
	s_mul_i32 s56, s54, s2
	s_mul_hi_u32 s24, s54, s24
	s_mul_hi_u32 s55, s54, s2
	s_add_u32 s24, s24, s56
	s_addc_u32 s55, 0, s55
	s_add_u32 s24, s24, s53
	s_mul_hi_u32 s3, s52, s2
	s_addc_u32 s24, s55, s47
	s_addc_u32 s3, s3, 0
	s_mul_i32 s2, s52, s2
	s_add_u32 s2, s24, s2
	s_addc_u32 s24, 0, s3
	s_add_u32 s47, s54, s2
	s_cselect_b64 s[2:3], -1, 0
	s_cmp_lg_u64 s[2:3], 0
	s_addc_u32 s24, s52, s24
	v_mad_u64_u32 v[5:6], s[2:3], v1, s24, 0
	v_mul_hi_u32 v8, v1, s47
	v_xor_b32_e32 v10, v7, v9
	v_add_co_u32_e32 v12, vcc, v8, v5
	v_addc_co_u32_e32 v13, vcc, 0, v6, vcc
	v_mad_u64_u32 v[5:6], s[2:3], v10, s47, 0
	v_mad_u64_u32 v[7:8], s[2:3], v10, s24, 0
	v_add_co_u32_e32 v5, vcc, v12, v5
	v_addc_co_u32_e32 v5, vcc, v13, v6, vcc
	v_addc_co_u32_e32 v6, vcc, 0, v8, vcc
	v_add_co_u32_e32 v7, vcc, v5, v7
	v_addc_co_u32_e32 v8, vcc, 0, v6, vcc
	v_mul_lo_u32 v12, s49, v7
	v_mul_lo_u32 v13, s48, v8
	v_mad_u64_u32 v[5:6], s[2:3], s48, v7, 0
	v_add3_u32 v6, v6, v13, v12
	v_sub_u32_e32 v12, v10, v6
	v_mov_b32_e32 v13, s49
	v_sub_co_u32_e32 v1, vcc, v1, v5
	v_subb_co_u32_e64 v5, s[2:3], v12, v13, vcc
	v_subrev_co_u32_e64 v12, s[2:3], s48, v1
	v_subbrev_co_u32_e64 v5, s[2:3], 0, v5, s[2:3]
	v_cmp_le_u32_e64 s[2:3], s49, v5
	v_cndmask_b32_e64 v13, 0, -1, s[2:3]
	v_cmp_le_u32_e64 s[2:3], s48, v12
	v_cndmask_b32_e64 v12, 0, -1, s[2:3]
	v_cmp_eq_u32_e64 s[2:3], s49, v5
	v_cndmask_b32_e64 v5, v13, v12, s[2:3]
	v_add_co_u32_e64 v12, s[2:3], 2, v7
	v_subb_co_u32_e32 v6, vcc, v10, v6, vcc
	v_addc_co_u32_e64 v13, s[2:3], 0, v8, s[2:3]
	v_cmp_le_u32_e32 vcc, s49, v6
	v_add_co_u32_e64 v14, s[2:3], 1, v7
	v_cndmask_b32_e64 v10, 0, -1, vcc
	v_cmp_le_u32_e32 vcc, s48, v1
	v_addc_co_u32_e64 v15, s[2:3], 0, v8, s[2:3]
	v_cndmask_b32_e64 v1, 0, -1, vcc
	v_cmp_eq_u32_e32 vcc, s49, v6
	v_cmp_ne_u32_e64 s[2:3], 0, v5
	v_cndmask_b32_e32 v1, v10, v1, vcc
	v_cndmask_b32_e64 v5, v15, v13, s[2:3]
	v_cmp_ne_u32_e32 vcc, 0, v1
	v_cndmask_b32_e32 v1, v8, v5, vcc
	v_cndmask_b32_e64 v5, v14, v12, s[2:3]
	v_cndmask_b32_e32 v5, v7, v5, vcc
	v_xor_b32_e32 v6, s46, v9
	v_xor_b32_e32 v5, v5, v6
	v_xor_b32_e32 v1, v1, v6
	v_sub_co_u32_e32 v5, vcc, v5, v6
	v_subb_co_u32_e32 v6, vcc, v1, v6, vcc
                                        ; implicit-def: $vgpr1
.LBB1_65:
	s_andn2_saveexec_b64 s[2:3], s[44:45]
	s_cbranch_execz .LBB1_67
; %bb.66:
	v_cvt_f32_u32_e32 v5, s16
	s_sub_i32 s24, 0, s16
	v_rcp_iflag_f32_e32 v5, v5
	v_mul_f32_e32 v5, 0x4f7ffffe, v5
	v_cvt_u32_f32_e32 v5, v5
	v_mul_lo_u32 v6, s24, v5
	v_mul_hi_u32 v6, v5, v6
	v_add_u32_e32 v5, v5, v6
	v_mul_hi_u32 v5, v1, v5
	v_mul_lo_u32 v6, v5, s16
	v_add_u32_e32 v7, 1, v5
	v_sub_u32_e32 v1, v1, v6
	v_subrev_u32_e32 v6, s16, v1
	v_cmp_le_u32_e32 vcc, s16, v1
	v_cndmask_b32_e32 v1, v1, v6, vcc
	v_cndmask_b32_e32 v5, v5, v7, vcc
	v_add_u32_e32 v6, 1, v5
	v_cmp_le_u32_e32 vcc, s16, v1
	v_cndmask_b32_e32 v5, v5, v6, vcc
	v_mov_b32_e32 v6, 0
.LBB1_67:
	s_or_b64 exec, exec, s[2:3]
.LBB1_68:
	s_or_b64 exec, exec, s[42:43]
	v_or_b32_e32 v8, s17, v4
	v_mov_b32_e32 v7, 0
	v_cmp_ne_u64_e32 vcc, 0, v[7:8]
                                        ; implicit-def: $vgpr7_vgpr8
	s_and_saveexec_b64 s[2:3], vcc
	s_xor_b64 s[42:43], exec, s[2:3]
	s_cbranch_execz .LBB1_70
; %bb.69:
	s_ashr_i32 s44, s17, 31
	s_add_u32 s2, s16, s44
	s_mov_b32 s45, s44
	s_addc_u32 s3, s17, s44
	s_xor_b64 s[46:47], s[2:3], s[44:45]
	v_cvt_f32_u32_e32 v1, s46
	v_cvt_f32_u32_e32 v7, s47
	s_sub_u32 s24, 0, s46
	s_subb_u32 s45, 0, s47
	v_madmk_f32 v1, v7, 0x4f800000, v1
	v_rcp_f32_e32 v1, v1
	v_mul_f32_e32 v1, 0x5f7ffffc, v1
	v_mul_f32_e32 v7, 0x2f800000, v1
	v_trunc_f32_e32 v7, v7
	v_madmk_f32 v1, v7, 0xcf800000, v1
	v_cvt_u32_f32_e32 v7, v7
	v_cvt_u32_f32_e32 v1, v1
	v_readfirstlane_b32 s48, v7
	v_readfirstlane_b32 s2, v1
	s_mul_i32 s3, s24, s48
	s_mul_hi_u32 s52, s24, s2
	s_mul_i32 s49, s45, s2
	s_add_i32 s3, s52, s3
	s_add_i32 s3, s3, s49
	s_mul_i32 s53, s24, s2
	s_mul_i32 s52, s2, s3
	s_mul_hi_u32 s54, s2, s53
	s_mul_hi_u32 s49, s2, s3
	s_add_u32 s52, s54, s52
	s_addc_u32 s49, 0, s49
	s_mul_hi_u32 s55, s48, s53
	s_mul_i32 s53, s48, s53
	s_add_u32 s52, s52, s53
	s_mul_hi_u32 s54, s48, s3
	s_addc_u32 s49, s49, s55
	s_addc_u32 s52, s54, 0
	s_mul_i32 s3, s48, s3
	s_add_u32 s3, s49, s3
	s_addc_u32 s49, 0, s52
	s_add_u32 s52, s2, s3
	s_cselect_b64 s[2:3], -1, 0
	s_cmp_lg_u64 s[2:3], 0
	s_addc_u32 s48, s48, s49
	s_mul_i32 s2, s24, s48
	s_mul_hi_u32 s3, s24, s52
	s_add_i32 s2, s3, s2
	s_mul_i32 s45, s45, s52
	s_add_i32 s2, s2, s45
	s_mul_i32 s24, s24, s52
	s_mul_hi_u32 s45, s48, s24
	s_mul_i32 s49, s48, s24
	s_mul_i32 s54, s52, s2
	s_mul_hi_u32 s24, s52, s24
	s_mul_hi_u32 s53, s52, s2
	s_add_u32 s24, s24, s54
	s_addc_u32 s53, 0, s53
	s_add_u32 s24, s24, s49
	s_mul_hi_u32 s3, s48, s2
	s_addc_u32 s24, s53, s45
	s_addc_u32 s3, s3, 0
	s_mul_i32 s2, s48, s2
	s_add_u32 s2, s24, s2
	s_addc_u32 s24, 0, s3
	s_add_u32 s45, s52, s2
	s_cselect_b64 s[2:3], -1, 0
	v_ashrrev_i32_e32 v1, 31, v4
	s_cmp_lg_u64 s[2:3], 0
	v_add_co_u32_e32 v7, vcc, v3, v1
	s_addc_u32 s24, s48, s24
	v_xor_b32_e32 v12, v7, v1
	v_mad_u64_u32 v[7:8], s[2:3], v12, s24, 0
	v_mul_hi_u32 v10, v12, s45
	v_addc_co_u32_e32 v9, vcc, v4, v1, vcc
	v_xor_b32_e32 v13, v9, v1
	v_add_co_u32_e32 v14, vcc, v10, v7
	v_addc_co_u32_e32 v15, vcc, 0, v8, vcc
	v_mad_u64_u32 v[7:8], s[2:3], v13, s45, 0
	v_mad_u64_u32 v[9:10], s[2:3], v13, s24, 0
	v_add_co_u32_e32 v7, vcc, v14, v7
	v_addc_co_u32_e32 v7, vcc, v15, v8, vcc
	v_addc_co_u32_e32 v8, vcc, 0, v10, vcc
	v_add_co_u32_e32 v9, vcc, v7, v9
	v_addc_co_u32_e32 v10, vcc, 0, v8, vcc
	v_mul_lo_u32 v14, s47, v9
	v_mul_lo_u32 v15, s46, v10
	v_mad_u64_u32 v[7:8], s[2:3], s46, v9, 0
	v_xor_b32_e32 v1, s44, v1
	v_add3_u32 v8, v8, v15, v14
	v_sub_u32_e32 v14, v13, v8
	v_mov_b32_e32 v15, s47
	v_sub_co_u32_e32 v7, vcc, v12, v7
	v_subb_co_u32_e64 v12, s[2:3], v14, v15, vcc
	v_subrev_co_u32_e64 v14, s[2:3], s46, v7
	v_subbrev_co_u32_e64 v12, s[2:3], 0, v12, s[2:3]
	v_cmp_le_u32_e64 s[2:3], s47, v12
	v_cndmask_b32_e64 v15, 0, -1, s[2:3]
	v_cmp_le_u32_e64 s[2:3], s46, v14
	v_cndmask_b32_e64 v14, 0, -1, s[2:3]
	v_cmp_eq_u32_e64 s[2:3], s47, v12
	v_cndmask_b32_e64 v12, v15, v14, s[2:3]
	v_add_co_u32_e64 v14, s[2:3], 2, v9
	v_subb_co_u32_e32 v8, vcc, v13, v8, vcc
	v_addc_co_u32_e64 v15, s[2:3], 0, v10, s[2:3]
	v_cmp_le_u32_e32 vcc, s47, v8
	v_add_co_u32_e64 v16, s[2:3], 1, v9
	v_cndmask_b32_e64 v13, 0, -1, vcc
	v_cmp_le_u32_e32 vcc, s46, v7
	v_addc_co_u32_e64 v17, s[2:3], 0, v10, s[2:3]
	v_cndmask_b32_e64 v7, 0, -1, vcc
	v_cmp_eq_u32_e32 vcc, s47, v8
	v_cmp_ne_u32_e64 s[2:3], 0, v12
	v_cndmask_b32_e32 v7, v13, v7, vcc
	v_cndmask_b32_e64 v12, v17, v15, s[2:3]
	v_cmp_ne_u32_e32 vcc, 0, v7
	v_cndmask_b32_e64 v8, v16, v14, s[2:3]
	v_cndmask_b32_e32 v7, v10, v12, vcc
	v_cndmask_b32_e32 v8, v9, v8, vcc
	v_xor_b32_e32 v9, v7, v1
	v_xor_b32_e32 v7, v8, v1
	v_sub_co_u32_e32 v7, vcc, v7, v1
	v_subb_co_u32_e32 v8, vcc, v9, v1, vcc
.LBB1_70:
	s_andn2_saveexec_b64 s[2:3], s[42:43]
	s_cbranch_execz .LBB1_72
; %bb.71:
	v_cvt_f32_u32_e32 v1, s16
	s_sub_i32 s24, 0, s16
	v_rcp_iflag_f32_e32 v1, v1
	v_mul_f32_e32 v1, 0x4f7ffffe, v1
	v_cvt_u32_f32_e32 v1, v1
	v_mul_lo_u32 v7, s24, v1
	v_mul_hi_u32 v7, v1, v7
	v_add_u32_e32 v1, v1, v7
	v_mul_hi_u32 v1, v3, v1
	v_mul_lo_u32 v7, v1, s16
	v_add_u32_e32 v8, 1, v1
	v_sub_u32_e32 v7, v3, v7
	v_subrev_u32_e32 v9, s16, v7
	v_cmp_le_u32_e32 vcc, s16, v7
	v_cndmask_b32_e32 v7, v7, v9, vcc
	v_cndmask_b32_e32 v1, v1, v8, vcc
	v_add_u32_e32 v8, 1, v1
	v_cmp_le_u32_e32 vcc, s16, v7
	v_cndmask_b32_e32 v7, v1, v8, vcc
	v_mov_b32_e32 v8, 0
.LBB1_72:
	s_or_b64 exec, exec, s[2:3]
	v_mul_lo_u32 v1, v6, s16
	v_mul_lo_u32 v12, v5, s17
	v_mad_u64_u32 v[9:10], s[2:3], v5, s16, 0
	v_add3_u32 v10, v10, v12, v1
	v_cmp_gt_i64_e32 vcc, v[9:10], v[3:4]
	v_mov_b32_e32 v1, s15
	v_add_co_u32_e64 v9, s[2:3], s14, v9
	v_addc_co_u32_e64 v10, s[2:3], v10, v1, s[2:3]
	v_cmp_ge_i64_e64 s[2:3], v[3:4], v[9:10]
	s_or_b64 s[2:3], vcc, s[2:3]
	v_cndmask_b32_e64 v1, 0, 1, s[2:3]
	v_add_co_u32_e32 v9, vcc, v5, v1
	v_addc_co_u32_e32 v10, vcc, 0, v6, vcc
	v_cmp_gt_i64_e32 vcc, s[4:5], v[7:8]
	v_mov_b32_e32 v1, s5
	v_cndmask_b32_e32 v6, v1, v8, vcc
	v_mov_b32_e32 v1, s4
	v_cndmask_b32_e32 v5, v1, v7, vcc
	v_cmp_le_i64_e32 vcc, v[9:10], v[5:6]
	s_and_saveexec_b64 s[42:43], vcc
	s_cbranch_execz .LBB1_75
; %bb.73:
	global_load_ubyte v12, v2, s[8:9]
	v_mul_lo_u32 v14, s17, v9
	v_mul_lo_u32 v15, s16, v10
	v_mad_u64_u32 v[7:8], s[2:3], s16, v9, 0
	v_mov_b32_e32 v13, s9
	v_add_co_u32_e32 v1, vcc, s8, v2
	v_addc_co_u32_e32 v2, vcc, 0, v13, vcc
	v_add3_u32 v8, v8, v15, v14
	v_mul_lo_u32 v15, s21, v9
	v_mul_lo_u32 v16, s20, v10
	v_mad_u64_u32 v[13:14], s[2:3], s20, v9, 0
	v_sub_co_u32_e32 v3, vcc, v3, v7
	v_subb_co_u32_e32 v4, vcc, v4, v8, vcc
	v_add3_u32 v14, v14, v16, v15
	v_mad_u64_u32 v[7:8], s[2:3], s22, v3, v[13:14]
	v_mul_lo_u32 v13, s22, v4
	v_mul_lo_u32 v14, s23, v3
	v_add_co_u32_e32 v3, vcc, -1, v9
	v_addc_co_u32_e32 v4, vcc, -1, v10, vcc
	s_mul_i32 s2, s16, s23
	s_mul_hi_u32 s3, s16, s22
	v_add3_u32 v8, v14, v8, v13
	v_add_co_u32_e32 v0, vcc, v7, v0
	s_add_i32 s2, s3, s2
	s_mul_i32 s3, s17, s22
	v_addc_co_u32_e32 v8, vcc, 0, v8, vcc
	s_add_i32 s2, s2, s3
	s_mul_i32 s3, s16, s22
	v_mov_b32_e32 v9, s11
	v_add_co_u32_e32 v7, vcc, s10, v0
	s_sub_u32 s24, s20, s3
	v_addc_co_u32_e32 v8, vcc, v9, v8, vcc
	s_subb_u32 s46, s21, s2
	s_mov_b64 s[44:45], 0
.LBB1_74:                               ; =>This Inner Loop Header: Depth=1
	global_load_ubyte v0, v[7:8], off
	v_add_co_u32_e32 v3, vcc, 1, v3
	v_addc_co_u32_e32 v4, vcc, 0, v4, vcc
	v_cmp_ge_i64_e64 s[2:3], v[3:4], v[5:6]
	v_mov_b32_e32 v9, s46
	v_add_co_u32_e32 v7, vcc, s24, v7
	v_addc_co_u32_e32 v8, vcc, v8, v9, vcc
	s_or_b64 s[44:45], s[2:3], s[44:45]
	s_waitcnt vmcnt(0)
	v_add_u16_e32 v12, v0, v12
	global_store_byte v[1:2], v12, off
	s_andn2_b64 exec, exec, s[44:45]
	s_cbranch_execnz .LBB1_74
.LBB1_75:
	s_or_b64 exec, exec, s[42:43]
	v_add_u32_e32 v11, 0x100, v11
	s_or_b64 exec, exec, s[18:19]
	v_cmp_gt_i32_e32 vcc, s51, v11
	s_and_saveexec_b64 s[2:3], vcc
	s_cbranch_execz .LBB1_99
.LBB1_76:
	s_and_b64 vcc, exec, s[0:1]
	s_cbranch_vccnz .LBB1_83
; %bb.77:
	v_mov_b32_e32 v2, 0
	s_andn2_b64 vcc, exec, s[40:41]
	v_mov_b32_e32 v0, 0
	v_mov_b32_e32 v4, 0
	s_cbranch_vccnz .LBB1_82
; %bb.78:
	s_add_i32 s0, s31, 1
	s_and_b32 s2, s0, 30
	s_add_u32 s0, s33, 0xffffffe8
	s_addc_u32 s1, s50, -1
	v_mov_b32_e32 v4, 0
	v_mov_b32_e32 v0, 0
	;; [unrolled: 1-line block ×4, first 2 shown]
.LBB1_79:                               ; =>This Inner Loop Header: Depth=1
	s_load_dwordx4 s[40:43], s[0:1], 0x1c
	s_load_dwordx2 s[18:19], s[0:1], 0x2c
	s_load_dwordx2 s[48:49], s[0:1], 0xec
	s_load_dwordx4 s[44:47], s[0:1], 0xdc
	s_add_u32 s0, s0, 24
	s_waitcnt lgkmcnt(0)
	v_mul_hi_u32 v3, s41, v1
	s_addc_u32 s1, s1, 0
	s_add_i32 s2, s2, -2
	s_cmp_eq_u32 s2, 0
	v_add_u32_e32 v3, v1, v3
	v_lshrrev_b32_e32 v3, s42, v3
	v_mul_lo_u32 v5, v3, s40
	v_mul_hi_u32 v6, s18, v3
	v_sub_u32_e32 v5, v1, v5
	v_add_u32_e32 v1, v3, v6
	v_lshrrev_b32_e32 v1, s19, v1
	v_mul_lo_u32 v8, v1, s43
	v_mul_lo_u32 v6, v5, s44
	;; [unrolled: 1-line block ×4, first 2 shown]
	v_sub_u32_e32 v3, v3, v8
	v_mul_lo_u32 v8, v3, s47
	v_mul_lo_u32 v9, v3, s48
	v_mul_lo_u32 v3, v3, s49
	v_add3_u32 v2, v6, v2, v8
	v_add3_u32 v0, v7, v0, v9
	v_add3_u32 v4, v5, v4, v3
	s_cbranch_scc0 .LBB1_79
; %bb.80:
	s_bitcmp1_b32 s31, 0
	s_cselect_b64 s[2:3], -1, 0
	s_and_b64 vcc, exec, s[2:3]
	s_cbranch_vccnz .LBB1_82
; %bb.81:
	s_load_dwordx2 s[2:3], s[0:1], 0x1c
	s_load_dword s24, s[0:1], 0x24
	s_load_dwordx2 s[18:19], s[0:1], 0xdc
	s_waitcnt lgkmcnt(0)
	v_mul_hi_u32 v3, s3, v1
	v_add_u32_e32 v3, v1, v3
	v_lshrrev_b32_e32 v3, s24, v3
	v_mul_lo_u32 v3, v3, s2
	s_load_dword s2, s[0:1], 0xe4
	v_sub_u32_e32 v5, v1, v3
	v_mad_u64_u32 v[2:3], s[0:1], v5, s18, v[2:3]
	v_mad_u64_u32 v[0:1], s[0:1], v5, s19, v[0:1]
	s_waitcnt lgkmcnt(0)
	v_mad_u64_u32 v[4:5], s[0:1], v5, s2, v[4:5]
.LBB1_82:
	s_cbranch_execz .LBB1_84
	s_branch .LBB1_86
.LBB1_83:
                                        ; implicit-def: $vgpr2
                                        ; implicit-def: $vgpr0
                                        ; implicit-def: $vgpr4
.LBB1_84:
	v_mul_hi_u32 v0, s26, v11
	s_andn2_b64 vcc, exec, s[34:35]
	v_add_u32_e32 v0, v11, v0
	v_lshrrev_b32_e32 v1, s27, v0
	v_mul_lo_u32 v0, v1, s25
	v_sub_u32_e32 v3, v11, v0
	v_mul_lo_u32 v2, v3, s36
	v_mul_lo_u32 v0, v3, s37
	;; [unrolled: 1-line block ×3, first 2 shown]
	s_cbranch_vccnz .LBB1_86
; %bb.85:
	v_mul_hi_u32 v3, s29, v1
	v_add_u32_e32 v3, v1, v3
	v_lshrrev_b32_e32 v3, s30, v3
	v_mul_lo_u32 v3, v3, s28
	v_sub_u32_e32 v5, v1, v3
	v_mad_u64_u32 v[2:3], s[0:1], v5, s39, v[2:3]
	v_mad_u64_u32 v[0:1], s[0:1], v5, s6, v[0:1]
	;; [unrolled: 1-line block ×3, first 2 shown]
.LBB1_86:
	global_load_dwordx2 v[3:4], v4, s[12:13]
	v_mov_b32_e32 v5, 0
	v_mov_b32_e32 v6, 0
	s_waitcnt vmcnt(0)
	v_cmp_lt_i64_e32 vcc, s[14:15], v[3:4]
	s_and_saveexec_b64 s[2:3], vcc
	s_cbranch_execz .LBB1_92
; %bb.87:
	v_mov_b32_e32 v5, s15
	v_subrev_co_u32_e32 v1, vcc, s14, v3
	v_subb_co_u32_e32 v7, vcc, v4, v5, vcc
	v_or_b32_e32 v6, s17, v7
	v_mov_b32_e32 v5, 0
	v_cmp_ne_u64_e32 vcc, 0, v[5:6]
                                        ; implicit-def: $vgpr5_vgpr6
	s_and_saveexec_b64 s[0:1], vcc
	s_xor_b64 s[6:7], exec, s[0:1]
	s_cbranch_execz .LBB1_89
; %bb.88:
	s_ashr_i32 s12, s17, 31
	s_add_u32 s0, s16, s12
	s_mov_b32 s13, s12
	s_addc_u32 s1, s17, s12
	s_xor_b64 s[18:19], s[0:1], s[12:13]
	v_cvt_f32_u32_e32 v5, s18
	v_cvt_f32_u32_e32 v6, s19
	s_sub_u32 s13, 0, s18
	s_subb_u32 s24, 0, s19
	v_ashrrev_i32_e32 v9, 31, v7
	v_madmk_f32 v5, v6, 0x4f800000, v5
	v_rcp_f32_e32 v5, v5
	v_add_co_u32_e32 v1, vcc, v1, v9
	v_xor_b32_e32 v1, v1, v9
	v_mul_f32_e32 v5, 0x5f7ffffc, v5
	v_mul_f32_e32 v6, 0x2f800000, v5
	v_trunc_f32_e32 v6, v6
	v_madmk_f32 v5, v6, 0xcf800000, v5
	v_cvt_u32_f32_e32 v6, v6
	v_cvt_u32_f32_e32 v5, v5
	v_addc_co_u32_e32 v7, vcc, v7, v9, vcc
	v_readfirstlane_b32 s25, v6
	v_readfirstlane_b32 s0, v5
	s_mul_i32 s1, s13, s25
	s_mul_hi_u32 s27, s13, s0
	s_mul_i32 s26, s24, s0
	s_add_i32 s1, s27, s1
	s_add_i32 s1, s1, s26
	s_mul_i32 s28, s13, s0
	s_mul_i32 s27, s0, s1
	s_mul_hi_u32 s29, s0, s28
	s_mul_hi_u32 s26, s0, s1
	s_add_u32 s27, s29, s27
	s_addc_u32 s26, 0, s26
	s_mul_hi_u32 s30, s25, s28
	s_mul_i32 s28, s25, s28
	s_add_u32 s27, s27, s28
	s_mul_hi_u32 s29, s25, s1
	s_addc_u32 s26, s26, s30
	s_addc_u32 s27, s29, 0
	s_mul_i32 s1, s25, s1
	s_add_u32 s1, s26, s1
	s_addc_u32 s26, 0, s27
	s_add_u32 s27, s0, s1
	s_cselect_b64 s[0:1], -1, 0
	s_cmp_lg_u64 s[0:1], 0
	s_addc_u32 s25, s25, s26
	s_mul_i32 s0, s13, s25
	s_mul_hi_u32 s1, s13, s27
	s_add_i32 s0, s1, s0
	s_mul_i32 s24, s24, s27
	s_add_i32 s0, s0, s24
	s_mul_i32 s13, s13, s27
	s_mul_hi_u32 s24, s25, s13
	s_mul_i32 s26, s25, s13
	s_mul_i32 s29, s27, s0
	s_mul_hi_u32 s13, s27, s13
	s_mul_hi_u32 s28, s27, s0
	s_add_u32 s13, s13, s29
	s_addc_u32 s28, 0, s28
	s_add_u32 s13, s13, s26
	s_mul_hi_u32 s1, s25, s0
	s_addc_u32 s13, s28, s24
	s_addc_u32 s1, s1, 0
	s_mul_i32 s0, s25, s0
	s_add_u32 s0, s13, s0
	s_addc_u32 s13, 0, s1
	s_add_u32 s24, s27, s0
	s_cselect_b64 s[0:1], -1, 0
	s_cmp_lg_u64 s[0:1], 0
	s_addc_u32 s13, s25, s13
	v_mad_u64_u32 v[5:6], s[0:1], v1, s13, 0
	v_mul_hi_u32 v8, v1, s24
	v_xor_b32_e32 v10, v7, v9
	v_add_co_u32_e32 v11, vcc, v8, v5
	v_addc_co_u32_e32 v12, vcc, 0, v6, vcc
	v_mad_u64_u32 v[5:6], s[0:1], v10, s24, 0
	v_mad_u64_u32 v[7:8], s[0:1], v10, s13, 0
	v_add_co_u32_e32 v5, vcc, v11, v5
	v_addc_co_u32_e32 v5, vcc, v12, v6, vcc
	v_addc_co_u32_e32 v6, vcc, 0, v8, vcc
	v_add_co_u32_e32 v7, vcc, v5, v7
	v_addc_co_u32_e32 v8, vcc, 0, v6, vcc
	v_mul_lo_u32 v11, s19, v7
	v_mul_lo_u32 v12, s18, v8
	v_mad_u64_u32 v[5:6], s[0:1], s18, v7, 0
	v_add3_u32 v6, v6, v12, v11
	v_sub_u32_e32 v11, v10, v6
	v_mov_b32_e32 v12, s19
	v_sub_co_u32_e32 v1, vcc, v1, v5
	v_subb_co_u32_e64 v5, s[0:1], v11, v12, vcc
	v_subrev_co_u32_e64 v11, s[0:1], s18, v1
	v_subbrev_co_u32_e64 v5, s[0:1], 0, v5, s[0:1]
	v_cmp_le_u32_e64 s[0:1], s19, v5
	v_cndmask_b32_e64 v12, 0, -1, s[0:1]
	v_cmp_le_u32_e64 s[0:1], s18, v11
	v_cndmask_b32_e64 v11, 0, -1, s[0:1]
	v_cmp_eq_u32_e64 s[0:1], s19, v5
	v_cndmask_b32_e64 v5, v12, v11, s[0:1]
	v_add_co_u32_e64 v11, s[0:1], 2, v7
	v_subb_co_u32_e32 v6, vcc, v10, v6, vcc
	v_addc_co_u32_e64 v12, s[0:1], 0, v8, s[0:1]
	v_cmp_le_u32_e32 vcc, s19, v6
	v_add_co_u32_e64 v13, s[0:1], 1, v7
	v_cndmask_b32_e64 v10, 0, -1, vcc
	v_cmp_le_u32_e32 vcc, s18, v1
	v_addc_co_u32_e64 v14, s[0:1], 0, v8, s[0:1]
	v_cndmask_b32_e64 v1, 0, -1, vcc
	v_cmp_eq_u32_e32 vcc, s19, v6
	v_cmp_ne_u32_e64 s[0:1], 0, v5
	v_cndmask_b32_e32 v1, v10, v1, vcc
	v_cndmask_b32_e64 v5, v14, v12, s[0:1]
	v_cmp_ne_u32_e32 vcc, 0, v1
	v_cndmask_b32_e32 v1, v8, v5, vcc
	v_cndmask_b32_e64 v5, v13, v11, s[0:1]
	v_cndmask_b32_e32 v5, v7, v5, vcc
	v_xor_b32_e32 v6, s12, v9
	v_xor_b32_e32 v5, v5, v6
	;; [unrolled: 1-line block ×3, first 2 shown]
	v_sub_co_u32_e32 v5, vcc, v5, v6
	v_subb_co_u32_e32 v6, vcc, v1, v6, vcc
                                        ; implicit-def: $vgpr1
.LBB1_89:
	s_andn2_saveexec_b64 s[0:1], s[6:7]
	s_cbranch_execz .LBB1_91
; %bb.90:
	v_cvt_f32_u32_e32 v5, s16
	s_sub_i32 s6, 0, s16
	v_rcp_iflag_f32_e32 v5, v5
	v_mul_f32_e32 v5, 0x4f7ffffe, v5
	v_cvt_u32_f32_e32 v5, v5
	v_mul_lo_u32 v6, s6, v5
	v_mul_hi_u32 v6, v5, v6
	v_add_u32_e32 v5, v5, v6
	v_mul_hi_u32 v5, v1, v5
	v_mul_lo_u32 v6, v5, s16
	v_add_u32_e32 v7, 1, v5
	v_sub_u32_e32 v1, v1, v6
	v_subrev_u32_e32 v6, s16, v1
	v_cmp_le_u32_e32 vcc, s16, v1
	v_cndmask_b32_e32 v1, v1, v6, vcc
	v_cndmask_b32_e32 v5, v5, v7, vcc
	v_add_u32_e32 v6, 1, v5
	v_cmp_le_u32_e32 vcc, s16, v1
	v_cndmask_b32_e32 v5, v5, v6, vcc
	v_mov_b32_e32 v6, 0
.LBB1_91:
	s_or_b64 exec, exec, s[0:1]
.LBB1_92:
	s_or_b64 exec, exec, s[2:3]
	v_or_b32_e32 v8, s17, v4
	v_mov_b32_e32 v7, 0
	v_cmp_ne_u64_e32 vcc, 0, v[7:8]
                                        ; implicit-def: $vgpr7_vgpr8
	s_and_saveexec_b64 s[0:1], vcc
	s_xor_b64 s[2:3], exec, s[0:1]
	s_cbranch_execz .LBB1_94
; %bb.93:
	s_ashr_i32 s6, s17, 31
	s_add_u32 s0, s16, s6
	s_mov_b32 s7, s6
	s_addc_u32 s1, s17, s6
	s_xor_b64 s[12:13], s[0:1], s[6:7]
	v_cvt_f32_u32_e32 v1, s12
	v_cvt_f32_u32_e32 v7, s13
	s_sub_u32 s7, 0, s12
	s_subb_u32 s18, 0, s13
	v_madmk_f32 v1, v7, 0x4f800000, v1
	v_rcp_f32_e32 v1, v1
	v_mul_f32_e32 v1, 0x5f7ffffc, v1
	v_mul_f32_e32 v7, 0x2f800000, v1
	v_trunc_f32_e32 v7, v7
	v_madmk_f32 v1, v7, 0xcf800000, v1
	v_cvt_u32_f32_e32 v7, v7
	v_cvt_u32_f32_e32 v1, v1
	v_readfirstlane_b32 s19, v7
	v_readfirstlane_b32 s0, v1
	s_mul_i32 s1, s7, s19
	s_mul_hi_u32 s25, s7, s0
	s_mul_i32 s24, s18, s0
	s_add_i32 s1, s25, s1
	s_add_i32 s1, s1, s24
	s_mul_i32 s26, s7, s0
	s_mul_i32 s25, s0, s1
	s_mul_hi_u32 s27, s0, s26
	s_mul_hi_u32 s24, s0, s1
	s_add_u32 s25, s27, s25
	s_addc_u32 s24, 0, s24
	s_mul_hi_u32 s28, s19, s26
	s_mul_i32 s26, s19, s26
	s_add_u32 s25, s25, s26
	s_mul_hi_u32 s27, s19, s1
	s_addc_u32 s24, s24, s28
	s_addc_u32 s25, s27, 0
	s_mul_i32 s1, s19, s1
	s_add_u32 s1, s24, s1
	s_addc_u32 s24, 0, s25
	s_add_u32 s25, s0, s1
	s_cselect_b64 s[0:1], -1, 0
	s_cmp_lg_u64 s[0:1], 0
	s_addc_u32 s19, s19, s24
	s_mul_i32 s0, s7, s19
	s_mul_hi_u32 s1, s7, s25
	s_add_i32 s0, s1, s0
	s_mul_i32 s18, s18, s25
	s_add_i32 s0, s0, s18
	s_mul_i32 s7, s7, s25
	s_mul_hi_u32 s18, s19, s7
	s_mul_i32 s24, s19, s7
	s_mul_i32 s27, s25, s0
	s_mul_hi_u32 s7, s25, s7
	s_mul_hi_u32 s26, s25, s0
	s_add_u32 s7, s7, s27
	s_addc_u32 s26, 0, s26
	s_add_u32 s7, s7, s24
	s_mul_hi_u32 s1, s19, s0
	s_addc_u32 s7, s26, s18
	s_addc_u32 s1, s1, 0
	s_mul_i32 s0, s19, s0
	s_add_u32 s0, s7, s0
	s_addc_u32 s7, 0, s1
	s_add_u32 s18, s25, s0
	s_cselect_b64 s[0:1], -1, 0
	v_ashrrev_i32_e32 v1, 31, v4
	s_cmp_lg_u64 s[0:1], 0
	v_add_co_u32_e32 v7, vcc, v3, v1
	s_addc_u32 s7, s19, s7
	v_xor_b32_e32 v11, v7, v1
	v_mad_u64_u32 v[7:8], s[0:1], v11, s7, 0
	v_mul_hi_u32 v10, v11, s18
	v_addc_co_u32_e32 v9, vcc, v4, v1, vcc
	v_xor_b32_e32 v12, v9, v1
	v_add_co_u32_e32 v13, vcc, v10, v7
	v_addc_co_u32_e32 v14, vcc, 0, v8, vcc
	v_mad_u64_u32 v[7:8], s[0:1], v12, s18, 0
	v_mad_u64_u32 v[9:10], s[0:1], v12, s7, 0
	v_add_co_u32_e32 v7, vcc, v13, v7
	v_addc_co_u32_e32 v7, vcc, v14, v8, vcc
	v_addc_co_u32_e32 v8, vcc, 0, v10, vcc
	v_add_co_u32_e32 v9, vcc, v7, v9
	v_addc_co_u32_e32 v10, vcc, 0, v8, vcc
	v_mul_lo_u32 v13, s13, v9
	v_mul_lo_u32 v14, s12, v10
	v_mad_u64_u32 v[7:8], s[0:1], s12, v9, 0
	v_xor_b32_e32 v1, s6, v1
	v_add3_u32 v8, v8, v14, v13
	v_sub_u32_e32 v13, v12, v8
	v_mov_b32_e32 v14, s13
	v_sub_co_u32_e32 v7, vcc, v11, v7
	v_subb_co_u32_e64 v11, s[0:1], v13, v14, vcc
	v_subrev_co_u32_e64 v13, s[0:1], s12, v7
	v_subbrev_co_u32_e64 v11, s[0:1], 0, v11, s[0:1]
	v_cmp_le_u32_e64 s[0:1], s13, v11
	v_cndmask_b32_e64 v14, 0, -1, s[0:1]
	v_cmp_le_u32_e64 s[0:1], s12, v13
	v_cndmask_b32_e64 v13, 0, -1, s[0:1]
	v_cmp_eq_u32_e64 s[0:1], s13, v11
	v_cndmask_b32_e64 v11, v14, v13, s[0:1]
	v_add_co_u32_e64 v13, s[0:1], 2, v9
	v_subb_co_u32_e32 v8, vcc, v12, v8, vcc
	v_addc_co_u32_e64 v14, s[0:1], 0, v10, s[0:1]
	v_cmp_le_u32_e32 vcc, s13, v8
	v_add_co_u32_e64 v15, s[0:1], 1, v9
	v_cndmask_b32_e64 v12, 0, -1, vcc
	v_cmp_le_u32_e32 vcc, s12, v7
	v_addc_co_u32_e64 v16, s[0:1], 0, v10, s[0:1]
	v_cndmask_b32_e64 v7, 0, -1, vcc
	v_cmp_eq_u32_e32 vcc, s13, v8
	v_cmp_ne_u32_e64 s[0:1], 0, v11
	v_cndmask_b32_e32 v7, v12, v7, vcc
	v_cndmask_b32_e64 v11, v16, v14, s[0:1]
	v_cmp_ne_u32_e32 vcc, 0, v7
	v_cndmask_b32_e64 v8, v15, v13, s[0:1]
	v_cndmask_b32_e32 v7, v10, v11, vcc
	v_cndmask_b32_e32 v8, v9, v8, vcc
	v_xor_b32_e32 v9, v7, v1
	v_xor_b32_e32 v7, v8, v1
	v_sub_co_u32_e32 v7, vcc, v7, v1
	v_subb_co_u32_e32 v8, vcc, v9, v1, vcc
.LBB1_94:
	s_andn2_saveexec_b64 s[0:1], s[2:3]
	s_cbranch_execz .LBB1_96
; %bb.95:
	v_cvt_f32_u32_e32 v1, s16
	s_sub_i32 s2, 0, s16
	v_rcp_iflag_f32_e32 v1, v1
	v_mul_f32_e32 v1, 0x4f7ffffe, v1
	v_cvt_u32_f32_e32 v1, v1
	v_mul_lo_u32 v7, s2, v1
	v_mul_hi_u32 v7, v1, v7
	v_add_u32_e32 v1, v1, v7
	v_mul_hi_u32 v1, v3, v1
	v_mul_lo_u32 v7, v1, s16
	v_add_u32_e32 v8, 1, v1
	v_sub_u32_e32 v7, v3, v7
	v_subrev_u32_e32 v9, s16, v7
	v_cmp_le_u32_e32 vcc, s16, v7
	v_cndmask_b32_e32 v7, v7, v9, vcc
	v_cndmask_b32_e32 v1, v1, v8, vcc
	v_add_u32_e32 v8, 1, v1
	v_cmp_le_u32_e32 vcc, s16, v7
	v_cndmask_b32_e32 v7, v1, v8, vcc
	v_mov_b32_e32 v8, 0
.LBB1_96:
	s_or_b64 exec, exec, s[0:1]
	v_mul_lo_u32 v1, v6, s16
	v_mul_lo_u32 v11, v5, s17
	v_mad_u64_u32 v[9:10], s[0:1], v5, s16, 0
	v_add3_u32 v10, v10, v11, v1
	v_cmp_gt_i64_e32 vcc, v[9:10], v[3:4]
	v_mov_b32_e32 v1, s15
	v_add_co_u32_e64 v9, s[0:1], s14, v9
	v_addc_co_u32_e64 v10, s[0:1], v10, v1, s[0:1]
	v_cmp_ge_i64_e64 s[0:1], v[3:4], v[9:10]
	s_or_b64 s[0:1], vcc, s[0:1]
	v_cndmask_b32_e64 v1, 0, 1, s[0:1]
	v_add_co_u32_e32 v9, vcc, v5, v1
	v_addc_co_u32_e32 v10, vcc, 0, v6, vcc
	v_cmp_gt_i64_e32 vcc, s[4:5], v[7:8]
	v_mov_b32_e32 v1, s5
	v_cndmask_b32_e32 v6, v1, v8, vcc
	v_mov_b32_e32 v1, s4
	v_cndmask_b32_e32 v5, v1, v7, vcc
	v_cmp_le_i64_e32 vcc, v[9:10], v[5:6]
	s_and_b64 exec, exec, vcc
	s_cbranch_execz .LBB1_99
; %bb.97:
	global_load_ubyte v11, v2, s[8:9]
	v_mul_lo_u32 v13, s17, v9
	v_mul_lo_u32 v14, s16, v10
	v_mad_u64_u32 v[7:8], s[0:1], s16, v9, 0
	v_mov_b32_e32 v12, s9
	v_add_co_u32_e32 v1, vcc, s8, v2
	v_addc_co_u32_e32 v2, vcc, 0, v12, vcc
	v_add3_u32 v8, v8, v14, v13
	v_mul_lo_u32 v14, s21, v9
	v_mul_lo_u32 v15, s20, v10
	v_mad_u64_u32 v[12:13], s[0:1], s20, v9, 0
	v_sub_co_u32_e32 v3, vcc, v3, v7
	v_subb_co_u32_e32 v4, vcc, v4, v8, vcc
	v_add3_u32 v13, v13, v15, v14
	v_mad_u64_u32 v[7:8], s[0:1], s22, v3, v[12:13]
	v_mul_lo_u32 v12, s22, v4
	v_mul_lo_u32 v13, s23, v3
	v_add_co_u32_e32 v3, vcc, -1, v9
	v_addc_co_u32_e32 v4, vcc, -1, v10, vcc
	s_mul_i32 s0, s16, s23
	s_mul_hi_u32 s1, s16, s22
	v_add3_u32 v8, v13, v8, v12
	v_add_co_u32_e32 v0, vcc, v7, v0
	s_add_i32 s0, s1, s0
	s_mul_i32 s1, s17, s22
	v_addc_co_u32_e32 v8, vcc, 0, v8, vcc
	s_add_i32 s0, s0, s1
	s_mul_i32 s1, s16, s22
	v_mov_b32_e32 v9, s11
	v_add_co_u32_e32 v7, vcc, s10, v0
	s_sub_u32 s4, s20, s1
	v_addc_co_u32_e32 v8, vcc, v9, v8, vcc
	s_subb_u32 s5, s21, s0
	s_mov_b64 s[2:3], 0
.LBB1_98:                               ; =>This Inner Loop Header: Depth=1
	global_load_ubyte v0, v[7:8], off
	v_add_co_u32_e32 v3, vcc, 1, v3
	v_addc_co_u32_e32 v4, vcc, 0, v4, vcc
	v_cmp_ge_i64_e64 s[0:1], v[3:4], v[5:6]
	v_mov_b32_e32 v9, s5
	v_add_co_u32_e32 v7, vcc, s4, v7
	v_addc_co_u32_e32 v8, vcc, v8, v9, vcc
	s_or_b64 s[2:3], s[0:1], s[2:3]
	s_waitcnt vmcnt(0)
	v_add_u16_e32 v11, v0, v11
	global_store_byte v[1:2], v11, off
	s_andn2_b64 exec, exec, s[2:3]
	s_cbranch_execnz .LBB1_98
.LBB1_99:
	s_endpgm
	.section	.rodata,"a",@progbits
	.p2align	6, 0x0
	.amdhsa_kernel _ZN2at6native12_GLOBAL__N_135_unfold_backward_elementwise_kernelILi256ELi4EZNS1_32_unfold_backward_internal_kernelIaEEvRNS_14TensorIteratorEllllllEUliE_EEviT1_
		.amdhsa_group_segment_fixed_size 0
		.amdhsa_private_segment_fixed_size 0
		.amdhsa_kernarg_size 464
		.amdhsa_user_sgpr_count 6
		.amdhsa_user_sgpr_private_segment_buffer 1
		.amdhsa_user_sgpr_dispatch_ptr 0
		.amdhsa_user_sgpr_queue_ptr 0
		.amdhsa_user_sgpr_kernarg_segment_ptr 1
		.amdhsa_user_sgpr_dispatch_id 0
		.amdhsa_user_sgpr_flat_scratch_init 0
		.amdhsa_user_sgpr_private_segment_size 0
		.amdhsa_uses_dynamic_stack 0
		.amdhsa_system_sgpr_private_segment_wavefront_offset 0
		.amdhsa_system_sgpr_workgroup_id_x 1
		.amdhsa_system_sgpr_workgroup_id_y 0
		.amdhsa_system_sgpr_workgroup_id_z 0
		.amdhsa_system_sgpr_workgroup_info 0
		.amdhsa_system_vgpr_workitem_id 0
		.amdhsa_next_free_vgpr 18
		.amdhsa_next_free_sgpr 58
		.amdhsa_reserve_vcc 1
		.amdhsa_reserve_flat_scratch 0
		.amdhsa_float_round_mode_32 0
		.amdhsa_float_round_mode_16_64 0
		.amdhsa_float_denorm_mode_32 3
		.amdhsa_float_denorm_mode_16_64 3
		.amdhsa_dx10_clamp 1
		.amdhsa_ieee_mode 1
		.amdhsa_fp16_overflow 0
		.amdhsa_exception_fp_ieee_invalid_op 0
		.amdhsa_exception_fp_denorm_src 0
		.amdhsa_exception_fp_ieee_div_zero 0
		.amdhsa_exception_fp_ieee_overflow 0
		.amdhsa_exception_fp_ieee_underflow 0
		.amdhsa_exception_fp_ieee_inexact 0
		.amdhsa_exception_int_div_zero 0
	.end_amdhsa_kernel
	.section	.text._ZN2at6native12_GLOBAL__N_135_unfold_backward_elementwise_kernelILi256ELi4EZNS1_32_unfold_backward_internal_kernelIaEEvRNS_14TensorIteratorEllllllEUliE_EEviT1_,"axG",@progbits,_ZN2at6native12_GLOBAL__N_135_unfold_backward_elementwise_kernelILi256ELi4EZNS1_32_unfold_backward_internal_kernelIaEEvRNS_14TensorIteratorEllllllEUliE_EEviT1_,comdat
.Lfunc_end1:
	.size	_ZN2at6native12_GLOBAL__N_135_unfold_backward_elementwise_kernelILi256ELi4EZNS1_32_unfold_backward_internal_kernelIaEEvRNS_14TensorIteratorEllllllEUliE_EEviT1_, .Lfunc_end1-_ZN2at6native12_GLOBAL__N_135_unfold_backward_elementwise_kernelILi256ELi4EZNS1_32_unfold_backward_internal_kernelIaEEvRNS_14TensorIteratorEllllllEUliE_EEviT1_
                                        ; -- End function
	.set _ZN2at6native12_GLOBAL__N_135_unfold_backward_elementwise_kernelILi256ELi4EZNS1_32_unfold_backward_internal_kernelIaEEvRNS_14TensorIteratorEllllllEUliE_EEviT1_.num_vgpr, 18
	.set _ZN2at6native12_GLOBAL__N_135_unfold_backward_elementwise_kernelILi256ELi4EZNS1_32_unfold_backward_internal_kernelIaEEvRNS_14TensorIteratorEllllllEUliE_EEviT1_.num_agpr, 0
	.set _ZN2at6native12_GLOBAL__N_135_unfold_backward_elementwise_kernelILi256ELi4EZNS1_32_unfold_backward_internal_kernelIaEEvRNS_14TensorIteratorEllllllEUliE_EEviT1_.numbered_sgpr, 58
	.set _ZN2at6native12_GLOBAL__N_135_unfold_backward_elementwise_kernelILi256ELi4EZNS1_32_unfold_backward_internal_kernelIaEEvRNS_14TensorIteratorEllllllEUliE_EEviT1_.num_named_barrier, 0
	.set _ZN2at6native12_GLOBAL__N_135_unfold_backward_elementwise_kernelILi256ELi4EZNS1_32_unfold_backward_internal_kernelIaEEvRNS_14TensorIteratorEllllllEUliE_EEviT1_.private_seg_size, 0
	.set _ZN2at6native12_GLOBAL__N_135_unfold_backward_elementwise_kernelILi256ELi4EZNS1_32_unfold_backward_internal_kernelIaEEvRNS_14TensorIteratorEllllllEUliE_EEviT1_.uses_vcc, 1
	.set _ZN2at6native12_GLOBAL__N_135_unfold_backward_elementwise_kernelILi256ELi4EZNS1_32_unfold_backward_internal_kernelIaEEvRNS_14TensorIteratorEllllllEUliE_EEviT1_.uses_flat_scratch, 0
	.set _ZN2at6native12_GLOBAL__N_135_unfold_backward_elementwise_kernelILi256ELi4EZNS1_32_unfold_backward_internal_kernelIaEEvRNS_14TensorIteratorEllllllEUliE_EEviT1_.has_dyn_sized_stack, 0
	.set _ZN2at6native12_GLOBAL__N_135_unfold_backward_elementwise_kernelILi256ELi4EZNS1_32_unfold_backward_internal_kernelIaEEvRNS_14TensorIteratorEllllllEUliE_EEviT1_.has_recursion, 0
	.set _ZN2at6native12_GLOBAL__N_135_unfold_backward_elementwise_kernelILi256ELi4EZNS1_32_unfold_backward_internal_kernelIaEEvRNS_14TensorIteratorEllllllEUliE_EEviT1_.has_indirect_call, 0
	.section	.AMDGPU.csdata,"",@progbits
; Kernel info:
; codeLenInByte = 9832
; TotalNumSgprs: 62
; NumVgprs: 18
; ScratchSize: 0
; MemoryBound: 0
; FloatMode: 240
; IeeeMode: 1
; LDSByteSize: 0 bytes/workgroup (compile time only)
; SGPRBlocks: 7
; VGPRBlocks: 4
; NumSGPRsForWavesPerEU: 62
; NumVGPRsForWavesPerEU: 18
; Occupancy: 10
; WaveLimiterHint : 1
; COMPUTE_PGM_RSRC2:SCRATCH_EN: 0
; COMPUTE_PGM_RSRC2:USER_SGPR: 6
; COMPUTE_PGM_RSRC2:TRAP_HANDLER: 0
; COMPUTE_PGM_RSRC2:TGID_X_EN: 1
; COMPUTE_PGM_RSRC2:TGID_Y_EN: 0
; COMPUTE_PGM_RSRC2:TGID_Z_EN: 0
; COMPUTE_PGM_RSRC2:TIDIG_COMP_CNT: 0
	.section	.text._ZN2at6native12_GLOBAL__N_135_unfold_backward_elementwise_kernelILi256ELi4EZNS1_32_unfold_backward_internal_kernelIiEEvRNS_14TensorIteratorEllllllEUliE_EEviT1_,"axG",@progbits,_ZN2at6native12_GLOBAL__N_135_unfold_backward_elementwise_kernelILi256ELi4EZNS1_32_unfold_backward_internal_kernelIiEEvRNS_14TensorIteratorEllllllEUliE_EEviT1_,comdat
	.globl	_ZN2at6native12_GLOBAL__N_135_unfold_backward_elementwise_kernelILi256ELi4EZNS1_32_unfold_backward_internal_kernelIiEEvRNS_14TensorIteratorEllllllEUliE_EEviT1_ ; -- Begin function _ZN2at6native12_GLOBAL__N_135_unfold_backward_elementwise_kernelILi256ELi4EZNS1_32_unfold_backward_internal_kernelIiEEvRNS_14TensorIteratorEllllllEUliE_EEviT1_
	.p2align	8
	.type	_ZN2at6native12_GLOBAL__N_135_unfold_backward_elementwise_kernelILi256ELi4EZNS1_32_unfold_backward_internal_kernelIiEEvRNS_14TensorIteratorEllllllEUliE_EEviT1_,@function
_ZN2at6native12_GLOBAL__N_135_unfold_backward_elementwise_kernelILi256ELi4EZNS1_32_unfold_backward_internal_kernelIiEEvRNS_14TensorIteratorEllllllEUliE_EEviT1_: ; @_ZN2at6native12_GLOBAL__N_135_unfold_backward_elementwise_kernelILi256ELi4EZNS1_32_unfold_backward_internal_kernelIiEEvRNS_14TensorIteratorEllllllEUliE_EEviT1_
; %bb.0:
	s_load_dword s51, s[4:5], 0x0
	s_load_dwordx8 s[24:31], s[4:5], 0x8
	s_add_u32 s33, s4, 8
	v_lshl_or_b32 v11, s6, 10, v0
	s_addc_u32 s50, s5, 0
	s_load_dwordx16 s[8:23], s[4:5], 0x190
	s_load_dwordx4 s[36:39], s[4:5], 0xcc
	s_load_dwordx2 s[6:7], s[4:5], 0xdc
	s_waitcnt lgkmcnt(0)
	v_sub_co_u32_e64 v0, s[0:1], s24, 1
	s_xor_b64 s[40:41], s[0:1], -1
	v_readfirstlane_b32 s0, v0
	s_min_u32 s31, s0, 15
	s_cmp_gt_u32 s24, 1
	v_cmp_lt_u32_e64 s[0:1], 1, v0
	s_cselect_b64 s[34:35], -1, 0
	s_add_u32 s4, s18, -1
	v_cndmask_b32_e64 v0, 0, 1, s[0:1]
	s_mov_b64 s[2:3], -1
	s_addc_u32 s5, s19, -1
	v_cmp_gt_i32_e32 vcc, s51, v11
	v_cmp_ne_u32_e64 s[0:1], 1, v0
	s_and_saveexec_b64 s[18:19], vcc
	s_cbranch_execnz .LBB2_4
; %bb.1:
	s_or_b64 exec, exec, s[18:19]
	v_cmp_gt_i32_e32 vcc, s51, v11
	s_and_saveexec_b64 s[18:19], vcc
	s_cbranch_execnz .LBB2_28
.LBB2_2:
	s_or_b64 exec, exec, s[18:19]
	v_cmp_gt_i32_e32 vcc, s51, v11
	s_and_saveexec_b64 s[18:19], vcc
	s_cbranch_execnz .LBB2_52
.LBB2_3:
	s_or_b64 exec, exec, s[18:19]
	v_cmp_gt_i32_e32 vcc, s51, v11
	s_and_saveexec_b64 s[2:3], vcc
	s_cbranch_execnz .LBB2_76
	s_branch .LBB2_99
.LBB2_4:
	s_and_b64 vcc, exec, s[0:1]
                                        ; implicit-def: $vgpr2
                                        ; implicit-def: $vgpr0
                                        ; implicit-def: $vgpr4
	s_cbranch_vccnz .LBB2_11
; %bb.5:
	v_mov_b32_e32 v2, 0
	s_andn2_b64 vcc, exec, s[40:41]
	v_mov_b32_e32 v0, 0
	v_mov_b32_e32 v4, 0
	s_cbranch_vccnz .LBB2_10
; %bb.6:
	s_add_i32 s2, s31, 1
	s_and_b32 s24, s2, 30
	s_add_u32 s2, s33, 0xffffffe8
	s_addc_u32 s3, s50, -1
	v_mov_b32_e32 v4, 0
	v_mov_b32_e32 v0, 0
	;; [unrolled: 1-line block ×4, first 2 shown]
.LBB2_7:                                ; =>This Inner Loop Header: Depth=1
	s_load_dwordx4 s[44:47], s[2:3], 0x1c
	s_load_dwordx2 s[42:43], s[2:3], 0x2c
	s_load_dwordx2 s[48:49], s[2:3], 0xec
	s_load_dwordx4 s[52:55], s[2:3], 0xdc
	s_add_u32 s2, s2, 24
	s_waitcnt lgkmcnt(0)
	v_mul_hi_u32 v3, s45, v1
	s_addc_u32 s3, s3, 0
	s_add_i32 s24, s24, -2
	s_cmp_lg_u32 s24, 0
	v_add_u32_e32 v3, v1, v3
	v_lshrrev_b32_e32 v3, s46, v3
	v_mul_lo_u32 v5, v3, s44
	v_mul_hi_u32 v6, s42, v3
	v_sub_u32_e32 v5, v1, v5
	v_add_u32_e32 v1, v3, v6
	v_lshrrev_b32_e32 v1, s43, v1
	v_mul_lo_u32 v8, v1, s47
	v_mul_lo_u32 v6, v5, s52
	;; [unrolled: 1-line block ×4, first 2 shown]
	v_sub_u32_e32 v3, v3, v8
	v_mul_lo_u32 v8, v3, s55
	v_mul_lo_u32 v9, v3, s48
	;; [unrolled: 1-line block ×3, first 2 shown]
	v_add3_u32 v2, v6, v2, v8
	v_add3_u32 v0, v7, v0, v9
	;; [unrolled: 1-line block ×3, first 2 shown]
	s_cbranch_scc1 .LBB2_7
; %bb.8:
	s_bitcmp1_b32 s31, 0
	s_cselect_b64 s[42:43], -1, 0
	s_and_b64 vcc, exec, s[42:43]
	s_cbranch_vccnz .LBB2_10
; %bb.9:
	s_load_dwordx2 s[42:43], s[2:3], 0x1c
	s_load_dword s24, s[2:3], 0x24
	s_load_dwordx2 s[44:45], s[2:3], 0xdc
	s_waitcnt lgkmcnt(0)
	v_mul_hi_u32 v3, s43, v1
	v_add_u32_e32 v3, v1, v3
	v_lshrrev_b32_e32 v3, s24, v3
	v_mul_lo_u32 v3, v3, s42
	s_load_dword s24, s[2:3], 0xe4
	v_sub_u32_e32 v5, v1, v3
	v_mad_u64_u32 v[2:3], s[2:3], v5, s44, v[2:3]
	v_mad_u64_u32 v[0:1], s[2:3], v5, s45, v[0:1]
	s_waitcnt lgkmcnt(0)
	v_mad_u64_u32 v[4:5], s[2:3], v5, s24, v[4:5]
.LBB2_10:
	s_mov_b64 s[2:3], 0
.LBB2_11:
	s_andn2_b64 vcc, exec, s[2:3]
	s_cbranch_vccnz .LBB2_14
; %bb.12:
	v_mul_hi_u32 v0, s26, v11
	s_andn2_b64 vcc, exec, s[34:35]
	v_add_u32_e32 v0, v11, v0
	v_lshrrev_b32_e32 v1, s27, v0
	v_mul_lo_u32 v0, v1, s25
	v_sub_u32_e32 v3, v11, v0
	v_mul_lo_u32 v2, v3, s36
	v_mul_lo_u32 v0, v3, s37
	v_mul_lo_u32 v4, v3, s38
	s_cbranch_vccnz .LBB2_14
; %bb.13:
	v_mul_hi_u32 v3, s29, v1
	v_add_u32_e32 v3, v1, v3
	v_lshrrev_b32_e32 v3, s30, v3
	v_mul_lo_u32 v3, v3, s28
	v_sub_u32_e32 v5, v1, v3
	v_mad_u64_u32 v[2:3], s[2:3], v5, s39, v[2:3]
	v_mad_u64_u32 v[0:1], s[2:3], v5, s6, v[0:1]
	;; [unrolled: 1-line block ×3, first 2 shown]
.LBB2_14:
	global_load_dwordx2 v[3:4], v4, s[12:13]
	v_mov_b32_e32 v5, 0
	v_mov_b32_e32 v6, 0
	s_waitcnt vmcnt(0)
	v_cmp_lt_i64_e32 vcc, s[14:15], v[3:4]
	s_and_saveexec_b64 s[42:43], vcc
	s_cbranch_execz .LBB2_20
; %bb.15:
	v_mov_b32_e32 v5, s15
	v_subrev_co_u32_e32 v1, vcc, s14, v3
	v_subb_co_u32_e32 v7, vcc, v4, v5, vcc
	v_or_b32_e32 v6, s17, v7
	v_mov_b32_e32 v5, 0
	v_cmp_ne_u64_e32 vcc, 0, v[5:6]
                                        ; implicit-def: $vgpr5_vgpr6
	s_and_saveexec_b64 s[2:3], vcc
	s_xor_b64 s[44:45], exec, s[2:3]
	s_cbranch_execz .LBB2_17
; %bb.16:
	s_ashr_i32 s46, s17, 31
	s_add_u32 s2, s16, s46
	s_mov_b32 s47, s46
	s_addc_u32 s3, s17, s46
	s_xor_b64 s[48:49], s[2:3], s[46:47]
	v_cvt_f32_u32_e32 v5, s48
	v_cvt_f32_u32_e32 v6, s49
	s_sub_u32 s24, 0, s48
	s_subb_u32 s47, 0, s49
	v_ashrrev_i32_e32 v9, 31, v7
	v_madmk_f32 v5, v6, 0x4f800000, v5
	v_rcp_f32_e32 v5, v5
	v_add_co_u32_e32 v1, vcc, v1, v9
	v_xor_b32_e32 v1, v1, v9
	v_mul_f32_e32 v5, 0x5f7ffffc, v5
	v_mul_f32_e32 v6, 0x2f800000, v5
	v_trunc_f32_e32 v6, v6
	v_madmk_f32 v5, v6, 0xcf800000, v5
	v_cvt_u32_f32_e32 v6, v6
	v_cvt_u32_f32_e32 v5, v5
	v_addc_co_u32_e32 v7, vcc, v7, v9, vcc
	v_readfirstlane_b32 s52, v6
	v_readfirstlane_b32 s2, v5
	s_mul_i32 s3, s24, s52
	s_mul_hi_u32 s54, s24, s2
	s_mul_i32 s53, s47, s2
	s_add_i32 s3, s54, s3
	s_add_i32 s3, s3, s53
	s_mul_i32 s55, s24, s2
	s_mul_i32 s54, s2, s3
	s_mul_hi_u32 s56, s2, s55
	s_mul_hi_u32 s53, s2, s3
	s_add_u32 s54, s56, s54
	s_addc_u32 s53, 0, s53
	s_mul_hi_u32 s57, s52, s55
	s_mul_i32 s55, s52, s55
	s_add_u32 s54, s54, s55
	s_mul_hi_u32 s56, s52, s3
	s_addc_u32 s53, s53, s57
	s_addc_u32 s54, s56, 0
	s_mul_i32 s3, s52, s3
	s_add_u32 s3, s53, s3
	s_addc_u32 s53, 0, s54
	s_add_u32 s54, s2, s3
	s_cselect_b64 s[2:3], -1, 0
	s_cmp_lg_u64 s[2:3], 0
	s_addc_u32 s52, s52, s53
	s_mul_i32 s2, s24, s52
	s_mul_hi_u32 s3, s24, s54
	s_add_i32 s2, s3, s2
	s_mul_i32 s47, s47, s54
	s_add_i32 s2, s2, s47
	s_mul_i32 s24, s24, s54
	s_mul_hi_u32 s47, s52, s24
	s_mul_i32 s53, s52, s24
	s_mul_i32 s56, s54, s2
	s_mul_hi_u32 s24, s54, s24
	s_mul_hi_u32 s55, s54, s2
	s_add_u32 s24, s24, s56
	s_addc_u32 s55, 0, s55
	s_add_u32 s24, s24, s53
	s_mul_hi_u32 s3, s52, s2
	s_addc_u32 s24, s55, s47
	s_addc_u32 s3, s3, 0
	s_mul_i32 s2, s52, s2
	s_add_u32 s2, s24, s2
	s_addc_u32 s24, 0, s3
	s_add_u32 s47, s54, s2
	s_cselect_b64 s[2:3], -1, 0
	s_cmp_lg_u64 s[2:3], 0
	s_addc_u32 s24, s52, s24
	v_mad_u64_u32 v[5:6], s[2:3], v1, s24, 0
	v_mul_hi_u32 v8, v1, s47
	v_xor_b32_e32 v10, v7, v9
	v_add_co_u32_e32 v12, vcc, v8, v5
	v_addc_co_u32_e32 v13, vcc, 0, v6, vcc
	v_mad_u64_u32 v[5:6], s[2:3], v10, s47, 0
	v_mad_u64_u32 v[7:8], s[2:3], v10, s24, 0
	v_add_co_u32_e32 v5, vcc, v12, v5
	v_addc_co_u32_e32 v5, vcc, v13, v6, vcc
	v_addc_co_u32_e32 v6, vcc, 0, v8, vcc
	v_add_co_u32_e32 v7, vcc, v5, v7
	v_addc_co_u32_e32 v8, vcc, 0, v6, vcc
	v_mul_lo_u32 v12, s49, v7
	v_mul_lo_u32 v13, s48, v8
	v_mad_u64_u32 v[5:6], s[2:3], s48, v7, 0
	v_add3_u32 v6, v6, v13, v12
	v_sub_u32_e32 v12, v10, v6
	v_mov_b32_e32 v13, s49
	v_sub_co_u32_e32 v1, vcc, v1, v5
	v_subb_co_u32_e64 v5, s[2:3], v12, v13, vcc
	v_subrev_co_u32_e64 v12, s[2:3], s48, v1
	v_subbrev_co_u32_e64 v5, s[2:3], 0, v5, s[2:3]
	v_cmp_le_u32_e64 s[2:3], s49, v5
	v_cndmask_b32_e64 v13, 0, -1, s[2:3]
	v_cmp_le_u32_e64 s[2:3], s48, v12
	v_cndmask_b32_e64 v12, 0, -1, s[2:3]
	v_cmp_eq_u32_e64 s[2:3], s49, v5
	v_cndmask_b32_e64 v5, v13, v12, s[2:3]
	v_add_co_u32_e64 v12, s[2:3], 2, v7
	v_subb_co_u32_e32 v6, vcc, v10, v6, vcc
	v_addc_co_u32_e64 v13, s[2:3], 0, v8, s[2:3]
	v_cmp_le_u32_e32 vcc, s49, v6
	v_add_co_u32_e64 v14, s[2:3], 1, v7
	v_cndmask_b32_e64 v10, 0, -1, vcc
	v_cmp_le_u32_e32 vcc, s48, v1
	v_addc_co_u32_e64 v15, s[2:3], 0, v8, s[2:3]
	v_cndmask_b32_e64 v1, 0, -1, vcc
	v_cmp_eq_u32_e32 vcc, s49, v6
	v_cmp_ne_u32_e64 s[2:3], 0, v5
	v_cndmask_b32_e32 v1, v10, v1, vcc
	v_cndmask_b32_e64 v5, v15, v13, s[2:3]
	v_cmp_ne_u32_e32 vcc, 0, v1
	v_cndmask_b32_e32 v1, v8, v5, vcc
	v_cndmask_b32_e64 v5, v14, v12, s[2:3]
	v_cndmask_b32_e32 v5, v7, v5, vcc
	v_xor_b32_e32 v6, s46, v9
	v_xor_b32_e32 v5, v5, v6
	;; [unrolled: 1-line block ×3, first 2 shown]
	v_sub_co_u32_e32 v5, vcc, v5, v6
	v_subb_co_u32_e32 v6, vcc, v1, v6, vcc
                                        ; implicit-def: $vgpr1
.LBB2_17:
	s_andn2_saveexec_b64 s[2:3], s[44:45]
	s_cbranch_execz .LBB2_19
; %bb.18:
	v_cvt_f32_u32_e32 v5, s16
	s_sub_i32 s24, 0, s16
	v_rcp_iflag_f32_e32 v5, v5
	v_mul_f32_e32 v5, 0x4f7ffffe, v5
	v_cvt_u32_f32_e32 v5, v5
	v_mul_lo_u32 v6, s24, v5
	v_mul_hi_u32 v6, v5, v6
	v_add_u32_e32 v5, v5, v6
	v_mul_hi_u32 v5, v1, v5
	v_mul_lo_u32 v6, v5, s16
	v_add_u32_e32 v7, 1, v5
	v_sub_u32_e32 v1, v1, v6
	v_subrev_u32_e32 v6, s16, v1
	v_cmp_le_u32_e32 vcc, s16, v1
	v_cndmask_b32_e32 v1, v1, v6, vcc
	v_cndmask_b32_e32 v5, v5, v7, vcc
	v_add_u32_e32 v6, 1, v5
	v_cmp_le_u32_e32 vcc, s16, v1
	v_cndmask_b32_e32 v5, v5, v6, vcc
	v_mov_b32_e32 v6, 0
.LBB2_19:
	s_or_b64 exec, exec, s[2:3]
.LBB2_20:
	s_or_b64 exec, exec, s[42:43]
	v_or_b32_e32 v8, s17, v4
	v_mov_b32_e32 v7, 0
	v_cmp_ne_u64_e32 vcc, 0, v[7:8]
                                        ; implicit-def: $vgpr7_vgpr8
	s_and_saveexec_b64 s[2:3], vcc
	s_xor_b64 s[42:43], exec, s[2:3]
	s_cbranch_execz .LBB2_22
; %bb.21:
	s_ashr_i32 s44, s17, 31
	s_add_u32 s2, s16, s44
	s_mov_b32 s45, s44
	s_addc_u32 s3, s17, s44
	s_xor_b64 s[46:47], s[2:3], s[44:45]
	v_cvt_f32_u32_e32 v1, s46
	v_cvt_f32_u32_e32 v7, s47
	s_sub_u32 s24, 0, s46
	s_subb_u32 s45, 0, s47
	v_madmk_f32 v1, v7, 0x4f800000, v1
	v_rcp_f32_e32 v1, v1
	v_mul_f32_e32 v1, 0x5f7ffffc, v1
	v_mul_f32_e32 v7, 0x2f800000, v1
	v_trunc_f32_e32 v7, v7
	v_madmk_f32 v1, v7, 0xcf800000, v1
	v_cvt_u32_f32_e32 v7, v7
	v_cvt_u32_f32_e32 v1, v1
	v_readfirstlane_b32 s48, v7
	v_readfirstlane_b32 s2, v1
	s_mul_i32 s3, s24, s48
	s_mul_hi_u32 s52, s24, s2
	s_mul_i32 s49, s45, s2
	s_add_i32 s3, s52, s3
	s_add_i32 s3, s3, s49
	s_mul_i32 s53, s24, s2
	s_mul_i32 s52, s2, s3
	s_mul_hi_u32 s54, s2, s53
	s_mul_hi_u32 s49, s2, s3
	s_add_u32 s52, s54, s52
	s_addc_u32 s49, 0, s49
	s_mul_hi_u32 s55, s48, s53
	s_mul_i32 s53, s48, s53
	s_add_u32 s52, s52, s53
	s_mul_hi_u32 s54, s48, s3
	s_addc_u32 s49, s49, s55
	s_addc_u32 s52, s54, 0
	s_mul_i32 s3, s48, s3
	s_add_u32 s3, s49, s3
	s_addc_u32 s49, 0, s52
	s_add_u32 s52, s2, s3
	s_cselect_b64 s[2:3], -1, 0
	s_cmp_lg_u64 s[2:3], 0
	s_addc_u32 s48, s48, s49
	s_mul_i32 s2, s24, s48
	s_mul_hi_u32 s3, s24, s52
	s_add_i32 s2, s3, s2
	s_mul_i32 s45, s45, s52
	s_add_i32 s2, s2, s45
	s_mul_i32 s24, s24, s52
	s_mul_hi_u32 s45, s48, s24
	s_mul_i32 s49, s48, s24
	s_mul_i32 s54, s52, s2
	s_mul_hi_u32 s24, s52, s24
	s_mul_hi_u32 s53, s52, s2
	s_add_u32 s24, s24, s54
	s_addc_u32 s53, 0, s53
	s_add_u32 s24, s24, s49
	s_mul_hi_u32 s3, s48, s2
	s_addc_u32 s24, s53, s45
	s_addc_u32 s3, s3, 0
	s_mul_i32 s2, s48, s2
	s_add_u32 s2, s24, s2
	s_addc_u32 s24, 0, s3
	s_add_u32 s45, s52, s2
	s_cselect_b64 s[2:3], -1, 0
	v_ashrrev_i32_e32 v1, 31, v4
	s_cmp_lg_u64 s[2:3], 0
	v_add_co_u32_e32 v7, vcc, v3, v1
	s_addc_u32 s24, s48, s24
	v_xor_b32_e32 v12, v7, v1
	v_mad_u64_u32 v[7:8], s[2:3], v12, s24, 0
	v_mul_hi_u32 v10, v12, s45
	v_addc_co_u32_e32 v9, vcc, v4, v1, vcc
	v_xor_b32_e32 v13, v9, v1
	v_add_co_u32_e32 v14, vcc, v10, v7
	v_addc_co_u32_e32 v15, vcc, 0, v8, vcc
	v_mad_u64_u32 v[7:8], s[2:3], v13, s45, 0
	v_mad_u64_u32 v[9:10], s[2:3], v13, s24, 0
	v_add_co_u32_e32 v7, vcc, v14, v7
	v_addc_co_u32_e32 v7, vcc, v15, v8, vcc
	v_addc_co_u32_e32 v8, vcc, 0, v10, vcc
	v_add_co_u32_e32 v9, vcc, v7, v9
	v_addc_co_u32_e32 v10, vcc, 0, v8, vcc
	v_mul_lo_u32 v14, s47, v9
	v_mul_lo_u32 v15, s46, v10
	v_mad_u64_u32 v[7:8], s[2:3], s46, v9, 0
	v_xor_b32_e32 v1, s44, v1
	v_add3_u32 v8, v8, v15, v14
	v_sub_u32_e32 v14, v13, v8
	v_mov_b32_e32 v15, s47
	v_sub_co_u32_e32 v7, vcc, v12, v7
	v_subb_co_u32_e64 v12, s[2:3], v14, v15, vcc
	v_subrev_co_u32_e64 v14, s[2:3], s46, v7
	v_subbrev_co_u32_e64 v12, s[2:3], 0, v12, s[2:3]
	v_cmp_le_u32_e64 s[2:3], s47, v12
	v_cndmask_b32_e64 v15, 0, -1, s[2:3]
	v_cmp_le_u32_e64 s[2:3], s46, v14
	v_cndmask_b32_e64 v14, 0, -1, s[2:3]
	v_cmp_eq_u32_e64 s[2:3], s47, v12
	v_cndmask_b32_e64 v12, v15, v14, s[2:3]
	v_add_co_u32_e64 v14, s[2:3], 2, v9
	v_subb_co_u32_e32 v8, vcc, v13, v8, vcc
	v_addc_co_u32_e64 v15, s[2:3], 0, v10, s[2:3]
	v_cmp_le_u32_e32 vcc, s47, v8
	v_add_co_u32_e64 v16, s[2:3], 1, v9
	v_cndmask_b32_e64 v13, 0, -1, vcc
	v_cmp_le_u32_e32 vcc, s46, v7
	v_addc_co_u32_e64 v17, s[2:3], 0, v10, s[2:3]
	v_cndmask_b32_e64 v7, 0, -1, vcc
	v_cmp_eq_u32_e32 vcc, s47, v8
	v_cmp_ne_u32_e64 s[2:3], 0, v12
	v_cndmask_b32_e32 v7, v13, v7, vcc
	v_cndmask_b32_e64 v12, v17, v15, s[2:3]
	v_cmp_ne_u32_e32 vcc, 0, v7
	v_cndmask_b32_e64 v8, v16, v14, s[2:3]
	v_cndmask_b32_e32 v7, v10, v12, vcc
	v_cndmask_b32_e32 v8, v9, v8, vcc
	v_xor_b32_e32 v9, v7, v1
	v_xor_b32_e32 v7, v8, v1
	v_sub_co_u32_e32 v7, vcc, v7, v1
	v_subb_co_u32_e32 v8, vcc, v9, v1, vcc
.LBB2_22:
	s_andn2_saveexec_b64 s[2:3], s[42:43]
	s_cbranch_execz .LBB2_24
; %bb.23:
	v_cvt_f32_u32_e32 v1, s16
	s_sub_i32 s24, 0, s16
	v_rcp_iflag_f32_e32 v1, v1
	v_mul_f32_e32 v1, 0x4f7ffffe, v1
	v_cvt_u32_f32_e32 v1, v1
	v_mul_lo_u32 v7, s24, v1
	v_mul_hi_u32 v7, v1, v7
	v_add_u32_e32 v1, v1, v7
	v_mul_hi_u32 v1, v3, v1
	v_mul_lo_u32 v7, v1, s16
	v_add_u32_e32 v8, 1, v1
	v_sub_u32_e32 v7, v3, v7
	v_subrev_u32_e32 v9, s16, v7
	v_cmp_le_u32_e32 vcc, s16, v7
	v_cndmask_b32_e32 v7, v7, v9, vcc
	v_cndmask_b32_e32 v1, v1, v8, vcc
	v_add_u32_e32 v8, 1, v1
	v_cmp_le_u32_e32 vcc, s16, v7
	v_cndmask_b32_e32 v7, v1, v8, vcc
	v_mov_b32_e32 v8, 0
.LBB2_24:
	s_or_b64 exec, exec, s[2:3]
	v_mul_lo_u32 v1, v6, s16
	v_mul_lo_u32 v12, v5, s17
	v_mad_u64_u32 v[9:10], s[2:3], v5, s16, 0
	v_add3_u32 v10, v10, v12, v1
	v_cmp_gt_i64_e32 vcc, v[9:10], v[3:4]
	v_mov_b32_e32 v1, s15
	v_add_co_u32_e64 v9, s[2:3], s14, v9
	v_addc_co_u32_e64 v10, s[2:3], v10, v1, s[2:3]
	v_cmp_ge_i64_e64 s[2:3], v[3:4], v[9:10]
	s_or_b64 s[2:3], vcc, s[2:3]
	v_cndmask_b32_e64 v1, 0, 1, s[2:3]
	v_add_co_u32_e32 v9, vcc, v5, v1
	v_addc_co_u32_e32 v10, vcc, 0, v6, vcc
	v_cmp_gt_i64_e32 vcc, s[4:5], v[7:8]
	v_mov_b32_e32 v1, s5
	v_cndmask_b32_e32 v6, v1, v8, vcc
	v_mov_b32_e32 v1, s4
	v_cndmask_b32_e32 v5, v1, v7, vcc
	v_cmp_le_i64_e32 vcc, v[9:10], v[5:6]
	s_and_saveexec_b64 s[42:43], vcc
	s_cbranch_execz .LBB2_27
; %bb.25:
	global_load_dword v12, v2, s[8:9]
	v_mul_lo_u32 v14, s17, v9
	v_mul_lo_u32 v15, s16, v10
	v_mad_u64_u32 v[7:8], s[2:3], s16, v9, 0
	v_mov_b32_e32 v13, s9
	v_add_co_u32_e32 v1, vcc, s8, v2
	v_addc_co_u32_e32 v2, vcc, 0, v13, vcc
	v_add3_u32 v8, v8, v15, v14
	v_sub_co_u32_e32 v3, vcc, v3, v7
	v_subb_co_u32_e32 v4, vcc, v4, v8, vcc
	v_mul_lo_u32 v15, s23, v3
	v_mul_lo_u32 v16, s22, v4
	v_mad_u64_u32 v[7:8], s[2:3], s22, v3, 0
	v_mul_lo_u32 v17, s21, v9
	v_mul_lo_u32 v18, s20, v10
	v_mad_u64_u32 v[13:14], s[2:3], s20, v9, 0
	v_add_co_u32_e32 v3, vcc, -1, v9
	v_add3_u32 v8, v8, v16, v15
	v_add3_u32 v14, v14, v18, v17
	v_addc_co_u32_e32 v4, vcc, -1, v10, vcc
	v_lshlrev_b64 v[7:8], 2, v[7:8]
	v_lshlrev_b64 v[9:10], 2, v[13:14]
	s_mul_i32 s24, s16, s23
	v_add_co_u32_e32 v7, vcc, v7, v9
	s_mul_hi_u32 s44, s16, s22
	v_addc_co_u32_e32 v8, vcc, v8, v10, vcc
	s_add_i32 s24, s44, s24
	s_mul_i32 s44, s17, s22
	v_add_co_u32_e32 v0, vcc, v7, v0
	s_add_i32 s45, s24, s44
	s_mul_i32 s44, s16, s22
	v_addc_co_u32_e32 v8, vcc, 0, v8, vcc
	s_lshl_b64 s[2:3], s[20:21], 2
	s_lshl_b64 s[44:45], s[44:45], 2
	v_mov_b32_e32 v9, s11
	v_add_co_u32_e32 v7, vcc, s10, v0
	s_sub_u32 s24, s2, s44
	v_addc_co_u32_e32 v8, vcc, v9, v8, vcc
	s_subb_u32 s46, s3, s45
	s_mov_b64 s[44:45], 0
.LBB2_26:                               ; =>This Inner Loop Header: Depth=1
	global_load_dword v0, v[7:8], off
	v_add_co_u32_e32 v3, vcc, 1, v3
	v_addc_co_u32_e32 v4, vcc, 0, v4, vcc
	v_cmp_ge_i64_e64 s[2:3], v[3:4], v[5:6]
	v_mov_b32_e32 v9, s46
	v_add_co_u32_e32 v7, vcc, s24, v7
	v_addc_co_u32_e32 v8, vcc, v8, v9, vcc
	s_or_b64 s[44:45], s[2:3], s[44:45]
	s_waitcnt vmcnt(0)
	v_add_u32_e32 v12, v0, v12
	global_store_dword v[1:2], v12, off
	s_andn2_b64 exec, exec, s[44:45]
	s_cbranch_execnz .LBB2_26
.LBB2_27:
	s_or_b64 exec, exec, s[42:43]
	v_add_u32_e32 v11, 0x100, v11
	s_or_b64 exec, exec, s[18:19]
	v_cmp_gt_i32_e32 vcc, s51, v11
	s_and_saveexec_b64 s[18:19], vcc
	s_cbranch_execz .LBB2_2
.LBB2_28:
	s_and_b64 vcc, exec, s[0:1]
	s_cbranch_vccnz .LBB2_35
; %bb.29:
	v_mov_b32_e32 v2, 0
	s_andn2_b64 vcc, exec, s[40:41]
	v_mov_b32_e32 v0, 0
	v_mov_b32_e32 v4, 0
	s_cbranch_vccnz .LBB2_34
; %bb.30:
	s_add_i32 s2, s31, 1
	s_and_b32 s24, s2, 30
	s_add_u32 s2, s33, 0xffffffe8
	s_addc_u32 s3, s50, -1
	v_mov_b32_e32 v4, 0
	v_mov_b32_e32 v0, 0
	;; [unrolled: 1-line block ×4, first 2 shown]
.LBB2_31:                               ; =>This Inner Loop Header: Depth=1
	s_load_dwordx4 s[44:47], s[2:3], 0x1c
	s_load_dwordx2 s[42:43], s[2:3], 0x2c
	s_load_dwordx2 s[48:49], s[2:3], 0xec
	s_load_dwordx4 s[52:55], s[2:3], 0xdc
	s_add_u32 s2, s2, 24
	s_waitcnt lgkmcnt(0)
	v_mul_hi_u32 v3, s45, v1
	s_addc_u32 s3, s3, 0
	s_add_i32 s24, s24, -2
	s_cmp_eq_u32 s24, 0
	v_add_u32_e32 v3, v1, v3
	v_lshrrev_b32_e32 v3, s46, v3
	v_mul_lo_u32 v5, v3, s44
	v_mul_hi_u32 v6, s42, v3
	v_sub_u32_e32 v5, v1, v5
	v_add_u32_e32 v1, v3, v6
	v_lshrrev_b32_e32 v1, s43, v1
	v_mul_lo_u32 v8, v1, s47
	v_mul_lo_u32 v6, v5, s52
	;; [unrolled: 1-line block ×4, first 2 shown]
	v_sub_u32_e32 v3, v3, v8
	v_mul_lo_u32 v8, v3, s55
	v_mul_lo_u32 v9, v3, s48
	;; [unrolled: 1-line block ×3, first 2 shown]
	v_add3_u32 v2, v6, v2, v8
	v_add3_u32 v0, v7, v0, v9
	;; [unrolled: 1-line block ×3, first 2 shown]
	s_cbranch_scc0 .LBB2_31
; %bb.32:
	s_bitcmp1_b32 s31, 0
	s_cselect_b64 s[42:43], -1, 0
	s_and_b64 vcc, exec, s[42:43]
	s_cbranch_vccnz .LBB2_34
; %bb.33:
	s_load_dwordx2 s[42:43], s[2:3], 0x1c
	s_load_dword s24, s[2:3], 0x24
	s_load_dwordx2 s[44:45], s[2:3], 0xdc
	s_waitcnt lgkmcnt(0)
	v_mul_hi_u32 v3, s43, v1
	v_add_u32_e32 v3, v1, v3
	v_lshrrev_b32_e32 v3, s24, v3
	v_mul_lo_u32 v3, v3, s42
	s_load_dword s24, s[2:3], 0xe4
	v_sub_u32_e32 v5, v1, v3
	v_mad_u64_u32 v[2:3], s[2:3], v5, s44, v[2:3]
	v_mad_u64_u32 v[0:1], s[2:3], v5, s45, v[0:1]
	s_waitcnt lgkmcnt(0)
	v_mad_u64_u32 v[4:5], s[2:3], v5, s24, v[4:5]
.LBB2_34:
	s_cbranch_execz .LBB2_36
	s_branch .LBB2_38
.LBB2_35:
                                        ; implicit-def: $vgpr2
                                        ; implicit-def: $vgpr0
                                        ; implicit-def: $vgpr4
.LBB2_36:
	v_mul_hi_u32 v0, s26, v11
	s_andn2_b64 vcc, exec, s[34:35]
	v_add_u32_e32 v0, v11, v0
	v_lshrrev_b32_e32 v1, s27, v0
	v_mul_lo_u32 v0, v1, s25
	v_sub_u32_e32 v3, v11, v0
	v_mul_lo_u32 v2, v3, s36
	v_mul_lo_u32 v0, v3, s37
	;; [unrolled: 1-line block ×3, first 2 shown]
	s_cbranch_vccnz .LBB2_38
; %bb.37:
	v_mul_hi_u32 v3, s29, v1
	v_add_u32_e32 v3, v1, v3
	v_lshrrev_b32_e32 v3, s30, v3
	v_mul_lo_u32 v3, v3, s28
	v_sub_u32_e32 v5, v1, v3
	v_mad_u64_u32 v[2:3], s[2:3], v5, s39, v[2:3]
	v_mad_u64_u32 v[0:1], s[2:3], v5, s6, v[0:1]
	;; [unrolled: 1-line block ×3, first 2 shown]
.LBB2_38:
	global_load_dwordx2 v[3:4], v4, s[12:13]
	v_mov_b32_e32 v5, 0
	v_mov_b32_e32 v6, 0
	s_waitcnt vmcnt(0)
	v_cmp_lt_i64_e32 vcc, s[14:15], v[3:4]
	s_and_saveexec_b64 s[42:43], vcc
	s_cbranch_execz .LBB2_44
; %bb.39:
	v_mov_b32_e32 v5, s15
	v_subrev_co_u32_e32 v1, vcc, s14, v3
	v_subb_co_u32_e32 v7, vcc, v4, v5, vcc
	v_or_b32_e32 v6, s17, v7
	v_mov_b32_e32 v5, 0
	v_cmp_ne_u64_e32 vcc, 0, v[5:6]
                                        ; implicit-def: $vgpr5_vgpr6
	s_and_saveexec_b64 s[2:3], vcc
	s_xor_b64 s[44:45], exec, s[2:3]
	s_cbranch_execz .LBB2_41
; %bb.40:
	s_ashr_i32 s46, s17, 31
	s_add_u32 s2, s16, s46
	s_mov_b32 s47, s46
	s_addc_u32 s3, s17, s46
	s_xor_b64 s[48:49], s[2:3], s[46:47]
	v_cvt_f32_u32_e32 v5, s48
	v_cvt_f32_u32_e32 v6, s49
	s_sub_u32 s24, 0, s48
	s_subb_u32 s47, 0, s49
	v_ashrrev_i32_e32 v9, 31, v7
	v_madmk_f32 v5, v6, 0x4f800000, v5
	v_rcp_f32_e32 v5, v5
	v_add_co_u32_e32 v1, vcc, v1, v9
	v_xor_b32_e32 v1, v1, v9
	v_mul_f32_e32 v5, 0x5f7ffffc, v5
	v_mul_f32_e32 v6, 0x2f800000, v5
	v_trunc_f32_e32 v6, v6
	v_madmk_f32 v5, v6, 0xcf800000, v5
	v_cvt_u32_f32_e32 v6, v6
	v_cvt_u32_f32_e32 v5, v5
	v_addc_co_u32_e32 v7, vcc, v7, v9, vcc
	v_readfirstlane_b32 s52, v6
	v_readfirstlane_b32 s2, v5
	s_mul_i32 s3, s24, s52
	s_mul_hi_u32 s54, s24, s2
	s_mul_i32 s53, s47, s2
	s_add_i32 s3, s54, s3
	s_add_i32 s3, s3, s53
	s_mul_i32 s55, s24, s2
	s_mul_i32 s54, s2, s3
	s_mul_hi_u32 s56, s2, s55
	s_mul_hi_u32 s53, s2, s3
	s_add_u32 s54, s56, s54
	s_addc_u32 s53, 0, s53
	s_mul_hi_u32 s57, s52, s55
	s_mul_i32 s55, s52, s55
	s_add_u32 s54, s54, s55
	s_mul_hi_u32 s56, s52, s3
	s_addc_u32 s53, s53, s57
	s_addc_u32 s54, s56, 0
	s_mul_i32 s3, s52, s3
	s_add_u32 s3, s53, s3
	s_addc_u32 s53, 0, s54
	s_add_u32 s54, s2, s3
	s_cselect_b64 s[2:3], -1, 0
	s_cmp_lg_u64 s[2:3], 0
	s_addc_u32 s52, s52, s53
	s_mul_i32 s2, s24, s52
	s_mul_hi_u32 s3, s24, s54
	s_add_i32 s2, s3, s2
	s_mul_i32 s47, s47, s54
	s_add_i32 s2, s2, s47
	s_mul_i32 s24, s24, s54
	s_mul_hi_u32 s47, s52, s24
	s_mul_i32 s53, s52, s24
	s_mul_i32 s56, s54, s2
	s_mul_hi_u32 s24, s54, s24
	s_mul_hi_u32 s55, s54, s2
	s_add_u32 s24, s24, s56
	s_addc_u32 s55, 0, s55
	s_add_u32 s24, s24, s53
	s_mul_hi_u32 s3, s52, s2
	s_addc_u32 s24, s55, s47
	s_addc_u32 s3, s3, 0
	s_mul_i32 s2, s52, s2
	s_add_u32 s2, s24, s2
	s_addc_u32 s24, 0, s3
	s_add_u32 s47, s54, s2
	s_cselect_b64 s[2:3], -1, 0
	s_cmp_lg_u64 s[2:3], 0
	s_addc_u32 s24, s52, s24
	v_mad_u64_u32 v[5:6], s[2:3], v1, s24, 0
	v_mul_hi_u32 v8, v1, s47
	v_xor_b32_e32 v10, v7, v9
	v_add_co_u32_e32 v12, vcc, v8, v5
	v_addc_co_u32_e32 v13, vcc, 0, v6, vcc
	v_mad_u64_u32 v[5:6], s[2:3], v10, s47, 0
	v_mad_u64_u32 v[7:8], s[2:3], v10, s24, 0
	v_add_co_u32_e32 v5, vcc, v12, v5
	v_addc_co_u32_e32 v5, vcc, v13, v6, vcc
	v_addc_co_u32_e32 v6, vcc, 0, v8, vcc
	v_add_co_u32_e32 v7, vcc, v5, v7
	v_addc_co_u32_e32 v8, vcc, 0, v6, vcc
	v_mul_lo_u32 v12, s49, v7
	v_mul_lo_u32 v13, s48, v8
	v_mad_u64_u32 v[5:6], s[2:3], s48, v7, 0
	v_add3_u32 v6, v6, v13, v12
	v_sub_u32_e32 v12, v10, v6
	v_mov_b32_e32 v13, s49
	v_sub_co_u32_e32 v1, vcc, v1, v5
	v_subb_co_u32_e64 v5, s[2:3], v12, v13, vcc
	v_subrev_co_u32_e64 v12, s[2:3], s48, v1
	v_subbrev_co_u32_e64 v5, s[2:3], 0, v5, s[2:3]
	v_cmp_le_u32_e64 s[2:3], s49, v5
	v_cndmask_b32_e64 v13, 0, -1, s[2:3]
	v_cmp_le_u32_e64 s[2:3], s48, v12
	v_cndmask_b32_e64 v12, 0, -1, s[2:3]
	v_cmp_eq_u32_e64 s[2:3], s49, v5
	v_cndmask_b32_e64 v5, v13, v12, s[2:3]
	v_add_co_u32_e64 v12, s[2:3], 2, v7
	v_subb_co_u32_e32 v6, vcc, v10, v6, vcc
	v_addc_co_u32_e64 v13, s[2:3], 0, v8, s[2:3]
	v_cmp_le_u32_e32 vcc, s49, v6
	v_add_co_u32_e64 v14, s[2:3], 1, v7
	v_cndmask_b32_e64 v10, 0, -1, vcc
	v_cmp_le_u32_e32 vcc, s48, v1
	v_addc_co_u32_e64 v15, s[2:3], 0, v8, s[2:3]
	v_cndmask_b32_e64 v1, 0, -1, vcc
	v_cmp_eq_u32_e32 vcc, s49, v6
	v_cmp_ne_u32_e64 s[2:3], 0, v5
	v_cndmask_b32_e32 v1, v10, v1, vcc
	v_cndmask_b32_e64 v5, v15, v13, s[2:3]
	v_cmp_ne_u32_e32 vcc, 0, v1
	v_cndmask_b32_e32 v1, v8, v5, vcc
	v_cndmask_b32_e64 v5, v14, v12, s[2:3]
	v_cndmask_b32_e32 v5, v7, v5, vcc
	v_xor_b32_e32 v6, s46, v9
	v_xor_b32_e32 v5, v5, v6
	;; [unrolled: 1-line block ×3, first 2 shown]
	v_sub_co_u32_e32 v5, vcc, v5, v6
	v_subb_co_u32_e32 v6, vcc, v1, v6, vcc
                                        ; implicit-def: $vgpr1
.LBB2_41:
	s_andn2_saveexec_b64 s[2:3], s[44:45]
	s_cbranch_execz .LBB2_43
; %bb.42:
	v_cvt_f32_u32_e32 v5, s16
	s_sub_i32 s24, 0, s16
	v_rcp_iflag_f32_e32 v5, v5
	v_mul_f32_e32 v5, 0x4f7ffffe, v5
	v_cvt_u32_f32_e32 v5, v5
	v_mul_lo_u32 v6, s24, v5
	v_mul_hi_u32 v6, v5, v6
	v_add_u32_e32 v5, v5, v6
	v_mul_hi_u32 v5, v1, v5
	v_mul_lo_u32 v6, v5, s16
	v_add_u32_e32 v7, 1, v5
	v_sub_u32_e32 v1, v1, v6
	v_subrev_u32_e32 v6, s16, v1
	v_cmp_le_u32_e32 vcc, s16, v1
	v_cndmask_b32_e32 v1, v1, v6, vcc
	v_cndmask_b32_e32 v5, v5, v7, vcc
	v_add_u32_e32 v6, 1, v5
	v_cmp_le_u32_e32 vcc, s16, v1
	v_cndmask_b32_e32 v5, v5, v6, vcc
	v_mov_b32_e32 v6, 0
.LBB2_43:
	s_or_b64 exec, exec, s[2:3]
.LBB2_44:
	s_or_b64 exec, exec, s[42:43]
	v_or_b32_e32 v8, s17, v4
	v_mov_b32_e32 v7, 0
	v_cmp_ne_u64_e32 vcc, 0, v[7:8]
                                        ; implicit-def: $vgpr7_vgpr8
	s_and_saveexec_b64 s[2:3], vcc
	s_xor_b64 s[42:43], exec, s[2:3]
	s_cbranch_execz .LBB2_46
; %bb.45:
	s_ashr_i32 s44, s17, 31
	s_add_u32 s2, s16, s44
	s_mov_b32 s45, s44
	s_addc_u32 s3, s17, s44
	s_xor_b64 s[46:47], s[2:3], s[44:45]
	v_cvt_f32_u32_e32 v1, s46
	v_cvt_f32_u32_e32 v7, s47
	s_sub_u32 s24, 0, s46
	s_subb_u32 s45, 0, s47
	v_madmk_f32 v1, v7, 0x4f800000, v1
	v_rcp_f32_e32 v1, v1
	v_mul_f32_e32 v1, 0x5f7ffffc, v1
	v_mul_f32_e32 v7, 0x2f800000, v1
	v_trunc_f32_e32 v7, v7
	v_madmk_f32 v1, v7, 0xcf800000, v1
	v_cvt_u32_f32_e32 v7, v7
	v_cvt_u32_f32_e32 v1, v1
	v_readfirstlane_b32 s48, v7
	v_readfirstlane_b32 s2, v1
	s_mul_i32 s3, s24, s48
	s_mul_hi_u32 s52, s24, s2
	s_mul_i32 s49, s45, s2
	s_add_i32 s3, s52, s3
	s_add_i32 s3, s3, s49
	s_mul_i32 s53, s24, s2
	s_mul_i32 s52, s2, s3
	s_mul_hi_u32 s54, s2, s53
	s_mul_hi_u32 s49, s2, s3
	s_add_u32 s52, s54, s52
	s_addc_u32 s49, 0, s49
	s_mul_hi_u32 s55, s48, s53
	s_mul_i32 s53, s48, s53
	s_add_u32 s52, s52, s53
	s_mul_hi_u32 s54, s48, s3
	s_addc_u32 s49, s49, s55
	s_addc_u32 s52, s54, 0
	s_mul_i32 s3, s48, s3
	s_add_u32 s3, s49, s3
	s_addc_u32 s49, 0, s52
	s_add_u32 s52, s2, s3
	s_cselect_b64 s[2:3], -1, 0
	s_cmp_lg_u64 s[2:3], 0
	s_addc_u32 s48, s48, s49
	s_mul_i32 s2, s24, s48
	s_mul_hi_u32 s3, s24, s52
	s_add_i32 s2, s3, s2
	s_mul_i32 s45, s45, s52
	s_add_i32 s2, s2, s45
	s_mul_i32 s24, s24, s52
	s_mul_hi_u32 s45, s48, s24
	s_mul_i32 s49, s48, s24
	s_mul_i32 s54, s52, s2
	s_mul_hi_u32 s24, s52, s24
	s_mul_hi_u32 s53, s52, s2
	s_add_u32 s24, s24, s54
	s_addc_u32 s53, 0, s53
	s_add_u32 s24, s24, s49
	s_mul_hi_u32 s3, s48, s2
	s_addc_u32 s24, s53, s45
	s_addc_u32 s3, s3, 0
	s_mul_i32 s2, s48, s2
	s_add_u32 s2, s24, s2
	s_addc_u32 s24, 0, s3
	s_add_u32 s45, s52, s2
	s_cselect_b64 s[2:3], -1, 0
	v_ashrrev_i32_e32 v1, 31, v4
	s_cmp_lg_u64 s[2:3], 0
	v_add_co_u32_e32 v7, vcc, v3, v1
	s_addc_u32 s24, s48, s24
	v_xor_b32_e32 v12, v7, v1
	v_mad_u64_u32 v[7:8], s[2:3], v12, s24, 0
	v_mul_hi_u32 v10, v12, s45
	v_addc_co_u32_e32 v9, vcc, v4, v1, vcc
	v_xor_b32_e32 v13, v9, v1
	v_add_co_u32_e32 v14, vcc, v10, v7
	v_addc_co_u32_e32 v15, vcc, 0, v8, vcc
	v_mad_u64_u32 v[7:8], s[2:3], v13, s45, 0
	v_mad_u64_u32 v[9:10], s[2:3], v13, s24, 0
	v_add_co_u32_e32 v7, vcc, v14, v7
	v_addc_co_u32_e32 v7, vcc, v15, v8, vcc
	v_addc_co_u32_e32 v8, vcc, 0, v10, vcc
	v_add_co_u32_e32 v9, vcc, v7, v9
	v_addc_co_u32_e32 v10, vcc, 0, v8, vcc
	v_mul_lo_u32 v14, s47, v9
	v_mul_lo_u32 v15, s46, v10
	v_mad_u64_u32 v[7:8], s[2:3], s46, v9, 0
	v_xor_b32_e32 v1, s44, v1
	v_add3_u32 v8, v8, v15, v14
	v_sub_u32_e32 v14, v13, v8
	v_mov_b32_e32 v15, s47
	v_sub_co_u32_e32 v7, vcc, v12, v7
	v_subb_co_u32_e64 v12, s[2:3], v14, v15, vcc
	v_subrev_co_u32_e64 v14, s[2:3], s46, v7
	v_subbrev_co_u32_e64 v12, s[2:3], 0, v12, s[2:3]
	v_cmp_le_u32_e64 s[2:3], s47, v12
	v_cndmask_b32_e64 v15, 0, -1, s[2:3]
	v_cmp_le_u32_e64 s[2:3], s46, v14
	v_cndmask_b32_e64 v14, 0, -1, s[2:3]
	v_cmp_eq_u32_e64 s[2:3], s47, v12
	v_cndmask_b32_e64 v12, v15, v14, s[2:3]
	v_add_co_u32_e64 v14, s[2:3], 2, v9
	v_subb_co_u32_e32 v8, vcc, v13, v8, vcc
	v_addc_co_u32_e64 v15, s[2:3], 0, v10, s[2:3]
	v_cmp_le_u32_e32 vcc, s47, v8
	v_add_co_u32_e64 v16, s[2:3], 1, v9
	v_cndmask_b32_e64 v13, 0, -1, vcc
	v_cmp_le_u32_e32 vcc, s46, v7
	v_addc_co_u32_e64 v17, s[2:3], 0, v10, s[2:3]
	v_cndmask_b32_e64 v7, 0, -1, vcc
	v_cmp_eq_u32_e32 vcc, s47, v8
	v_cmp_ne_u32_e64 s[2:3], 0, v12
	v_cndmask_b32_e32 v7, v13, v7, vcc
	v_cndmask_b32_e64 v12, v17, v15, s[2:3]
	v_cmp_ne_u32_e32 vcc, 0, v7
	v_cndmask_b32_e64 v8, v16, v14, s[2:3]
	v_cndmask_b32_e32 v7, v10, v12, vcc
	v_cndmask_b32_e32 v8, v9, v8, vcc
	v_xor_b32_e32 v9, v7, v1
	v_xor_b32_e32 v7, v8, v1
	v_sub_co_u32_e32 v7, vcc, v7, v1
	v_subb_co_u32_e32 v8, vcc, v9, v1, vcc
.LBB2_46:
	s_andn2_saveexec_b64 s[2:3], s[42:43]
	s_cbranch_execz .LBB2_48
; %bb.47:
	v_cvt_f32_u32_e32 v1, s16
	s_sub_i32 s24, 0, s16
	v_rcp_iflag_f32_e32 v1, v1
	v_mul_f32_e32 v1, 0x4f7ffffe, v1
	v_cvt_u32_f32_e32 v1, v1
	v_mul_lo_u32 v7, s24, v1
	v_mul_hi_u32 v7, v1, v7
	v_add_u32_e32 v1, v1, v7
	v_mul_hi_u32 v1, v3, v1
	v_mul_lo_u32 v7, v1, s16
	v_add_u32_e32 v8, 1, v1
	v_sub_u32_e32 v7, v3, v7
	v_subrev_u32_e32 v9, s16, v7
	v_cmp_le_u32_e32 vcc, s16, v7
	v_cndmask_b32_e32 v7, v7, v9, vcc
	v_cndmask_b32_e32 v1, v1, v8, vcc
	v_add_u32_e32 v8, 1, v1
	v_cmp_le_u32_e32 vcc, s16, v7
	v_cndmask_b32_e32 v7, v1, v8, vcc
	v_mov_b32_e32 v8, 0
.LBB2_48:
	s_or_b64 exec, exec, s[2:3]
	v_mul_lo_u32 v1, v6, s16
	v_mul_lo_u32 v12, v5, s17
	v_mad_u64_u32 v[9:10], s[2:3], v5, s16, 0
	v_add3_u32 v10, v10, v12, v1
	v_cmp_gt_i64_e32 vcc, v[9:10], v[3:4]
	v_mov_b32_e32 v1, s15
	v_add_co_u32_e64 v9, s[2:3], s14, v9
	v_addc_co_u32_e64 v10, s[2:3], v10, v1, s[2:3]
	v_cmp_ge_i64_e64 s[2:3], v[3:4], v[9:10]
	s_or_b64 s[2:3], vcc, s[2:3]
	v_cndmask_b32_e64 v1, 0, 1, s[2:3]
	v_add_co_u32_e32 v9, vcc, v5, v1
	v_addc_co_u32_e32 v10, vcc, 0, v6, vcc
	v_cmp_gt_i64_e32 vcc, s[4:5], v[7:8]
	v_mov_b32_e32 v1, s5
	v_cndmask_b32_e32 v6, v1, v8, vcc
	v_mov_b32_e32 v1, s4
	v_cndmask_b32_e32 v5, v1, v7, vcc
	v_cmp_le_i64_e32 vcc, v[9:10], v[5:6]
	s_and_saveexec_b64 s[42:43], vcc
	s_cbranch_execz .LBB2_51
; %bb.49:
	global_load_dword v12, v2, s[8:9]
	v_mul_lo_u32 v14, s17, v9
	v_mul_lo_u32 v15, s16, v10
	v_mad_u64_u32 v[7:8], s[2:3], s16, v9, 0
	v_mov_b32_e32 v13, s9
	v_add_co_u32_e32 v1, vcc, s8, v2
	v_addc_co_u32_e32 v2, vcc, 0, v13, vcc
	v_add3_u32 v8, v8, v15, v14
	v_sub_co_u32_e32 v3, vcc, v3, v7
	v_subb_co_u32_e32 v4, vcc, v4, v8, vcc
	v_mul_lo_u32 v15, s23, v3
	v_mul_lo_u32 v16, s22, v4
	v_mad_u64_u32 v[7:8], s[2:3], s22, v3, 0
	v_mul_lo_u32 v17, s21, v9
	v_mul_lo_u32 v18, s20, v10
	v_mad_u64_u32 v[13:14], s[2:3], s20, v9, 0
	v_add_co_u32_e32 v3, vcc, -1, v9
	v_add3_u32 v8, v8, v16, v15
	v_add3_u32 v14, v14, v18, v17
	v_addc_co_u32_e32 v4, vcc, -1, v10, vcc
	v_lshlrev_b64 v[7:8], 2, v[7:8]
	v_lshlrev_b64 v[9:10], 2, v[13:14]
	s_mul_i32 s24, s16, s23
	v_add_co_u32_e32 v7, vcc, v7, v9
	s_mul_hi_u32 s44, s16, s22
	v_addc_co_u32_e32 v8, vcc, v8, v10, vcc
	s_add_i32 s24, s44, s24
	s_mul_i32 s44, s17, s22
	v_add_co_u32_e32 v0, vcc, v7, v0
	s_add_i32 s45, s24, s44
	s_mul_i32 s44, s16, s22
	v_addc_co_u32_e32 v8, vcc, 0, v8, vcc
	s_lshl_b64 s[2:3], s[20:21], 2
	s_lshl_b64 s[44:45], s[44:45], 2
	v_mov_b32_e32 v9, s11
	v_add_co_u32_e32 v7, vcc, s10, v0
	s_sub_u32 s24, s2, s44
	v_addc_co_u32_e32 v8, vcc, v9, v8, vcc
	s_subb_u32 s46, s3, s45
	s_mov_b64 s[44:45], 0
.LBB2_50:                               ; =>This Inner Loop Header: Depth=1
	global_load_dword v0, v[7:8], off
	v_add_co_u32_e32 v3, vcc, 1, v3
	v_addc_co_u32_e32 v4, vcc, 0, v4, vcc
	v_cmp_ge_i64_e64 s[2:3], v[3:4], v[5:6]
	v_mov_b32_e32 v9, s46
	v_add_co_u32_e32 v7, vcc, s24, v7
	v_addc_co_u32_e32 v8, vcc, v8, v9, vcc
	s_or_b64 s[44:45], s[2:3], s[44:45]
	s_waitcnt vmcnt(0)
	v_add_u32_e32 v12, v0, v12
	global_store_dword v[1:2], v12, off
	s_andn2_b64 exec, exec, s[44:45]
	s_cbranch_execnz .LBB2_50
.LBB2_51:
	s_or_b64 exec, exec, s[42:43]
	v_add_u32_e32 v11, 0x100, v11
	s_or_b64 exec, exec, s[18:19]
	v_cmp_gt_i32_e32 vcc, s51, v11
	s_and_saveexec_b64 s[18:19], vcc
	s_cbranch_execz .LBB2_3
.LBB2_52:
	s_and_b64 vcc, exec, s[0:1]
	s_cbranch_vccnz .LBB2_59
; %bb.53:
	v_mov_b32_e32 v2, 0
	s_andn2_b64 vcc, exec, s[40:41]
	v_mov_b32_e32 v0, 0
	v_mov_b32_e32 v4, 0
	s_cbranch_vccnz .LBB2_58
; %bb.54:
	s_add_i32 s2, s31, 1
	s_and_b32 s24, s2, 30
	s_add_u32 s2, s33, 0xffffffe8
	s_addc_u32 s3, s50, -1
	v_mov_b32_e32 v4, 0
	v_mov_b32_e32 v0, 0
	v_mov_b32_e32 v2, 0
	v_mov_b32_e32 v1, v11
.LBB2_55:                               ; =>This Inner Loop Header: Depth=1
	s_load_dwordx4 s[44:47], s[2:3], 0x1c
	s_load_dwordx2 s[42:43], s[2:3], 0x2c
	s_load_dwordx2 s[48:49], s[2:3], 0xec
	s_load_dwordx4 s[52:55], s[2:3], 0xdc
	s_add_u32 s2, s2, 24
	s_waitcnt lgkmcnt(0)
	v_mul_hi_u32 v3, s45, v1
	s_addc_u32 s3, s3, 0
	s_add_i32 s24, s24, -2
	s_cmp_eq_u32 s24, 0
	v_add_u32_e32 v3, v1, v3
	v_lshrrev_b32_e32 v3, s46, v3
	v_mul_lo_u32 v5, v3, s44
	v_mul_hi_u32 v6, s42, v3
	v_sub_u32_e32 v5, v1, v5
	v_add_u32_e32 v1, v3, v6
	v_lshrrev_b32_e32 v1, s43, v1
	v_mul_lo_u32 v8, v1, s47
	v_mul_lo_u32 v6, v5, s52
	;; [unrolled: 1-line block ×4, first 2 shown]
	v_sub_u32_e32 v3, v3, v8
	v_mul_lo_u32 v8, v3, s55
	v_mul_lo_u32 v9, v3, s48
	;; [unrolled: 1-line block ×3, first 2 shown]
	v_add3_u32 v2, v6, v2, v8
	v_add3_u32 v0, v7, v0, v9
	;; [unrolled: 1-line block ×3, first 2 shown]
	s_cbranch_scc0 .LBB2_55
; %bb.56:
	s_bitcmp1_b32 s31, 0
	s_cselect_b64 s[42:43], -1, 0
	s_and_b64 vcc, exec, s[42:43]
	s_cbranch_vccnz .LBB2_58
; %bb.57:
	s_load_dwordx2 s[42:43], s[2:3], 0x1c
	s_load_dword s24, s[2:3], 0x24
	s_load_dwordx2 s[44:45], s[2:3], 0xdc
	s_waitcnt lgkmcnt(0)
	v_mul_hi_u32 v3, s43, v1
	v_add_u32_e32 v3, v1, v3
	v_lshrrev_b32_e32 v3, s24, v3
	v_mul_lo_u32 v3, v3, s42
	s_load_dword s24, s[2:3], 0xe4
	v_sub_u32_e32 v5, v1, v3
	v_mad_u64_u32 v[2:3], s[2:3], v5, s44, v[2:3]
	v_mad_u64_u32 v[0:1], s[2:3], v5, s45, v[0:1]
	s_waitcnt lgkmcnt(0)
	v_mad_u64_u32 v[4:5], s[2:3], v5, s24, v[4:5]
.LBB2_58:
	s_cbranch_execz .LBB2_60
	s_branch .LBB2_62
.LBB2_59:
                                        ; implicit-def: $vgpr2
                                        ; implicit-def: $vgpr0
                                        ; implicit-def: $vgpr4
.LBB2_60:
	v_mul_hi_u32 v0, s26, v11
	s_andn2_b64 vcc, exec, s[34:35]
	v_add_u32_e32 v0, v11, v0
	v_lshrrev_b32_e32 v1, s27, v0
	v_mul_lo_u32 v0, v1, s25
	v_sub_u32_e32 v3, v11, v0
	v_mul_lo_u32 v2, v3, s36
	v_mul_lo_u32 v0, v3, s37
	;; [unrolled: 1-line block ×3, first 2 shown]
	s_cbranch_vccnz .LBB2_62
; %bb.61:
	v_mul_hi_u32 v3, s29, v1
	v_add_u32_e32 v3, v1, v3
	v_lshrrev_b32_e32 v3, s30, v3
	v_mul_lo_u32 v3, v3, s28
	v_sub_u32_e32 v5, v1, v3
	v_mad_u64_u32 v[2:3], s[2:3], v5, s39, v[2:3]
	v_mad_u64_u32 v[0:1], s[2:3], v5, s6, v[0:1]
	;; [unrolled: 1-line block ×3, first 2 shown]
.LBB2_62:
	global_load_dwordx2 v[3:4], v4, s[12:13]
	v_mov_b32_e32 v5, 0
	v_mov_b32_e32 v6, 0
	s_waitcnt vmcnt(0)
	v_cmp_lt_i64_e32 vcc, s[14:15], v[3:4]
	s_and_saveexec_b64 s[42:43], vcc
	s_cbranch_execz .LBB2_68
; %bb.63:
	v_mov_b32_e32 v5, s15
	v_subrev_co_u32_e32 v1, vcc, s14, v3
	v_subb_co_u32_e32 v7, vcc, v4, v5, vcc
	v_or_b32_e32 v6, s17, v7
	v_mov_b32_e32 v5, 0
	v_cmp_ne_u64_e32 vcc, 0, v[5:6]
                                        ; implicit-def: $vgpr5_vgpr6
	s_and_saveexec_b64 s[2:3], vcc
	s_xor_b64 s[44:45], exec, s[2:3]
	s_cbranch_execz .LBB2_65
; %bb.64:
	s_ashr_i32 s46, s17, 31
	s_add_u32 s2, s16, s46
	s_mov_b32 s47, s46
	s_addc_u32 s3, s17, s46
	s_xor_b64 s[48:49], s[2:3], s[46:47]
	v_cvt_f32_u32_e32 v5, s48
	v_cvt_f32_u32_e32 v6, s49
	s_sub_u32 s24, 0, s48
	s_subb_u32 s47, 0, s49
	v_ashrrev_i32_e32 v9, 31, v7
	v_madmk_f32 v5, v6, 0x4f800000, v5
	v_rcp_f32_e32 v5, v5
	v_add_co_u32_e32 v1, vcc, v1, v9
	v_xor_b32_e32 v1, v1, v9
	v_mul_f32_e32 v5, 0x5f7ffffc, v5
	v_mul_f32_e32 v6, 0x2f800000, v5
	v_trunc_f32_e32 v6, v6
	v_madmk_f32 v5, v6, 0xcf800000, v5
	v_cvt_u32_f32_e32 v6, v6
	v_cvt_u32_f32_e32 v5, v5
	v_addc_co_u32_e32 v7, vcc, v7, v9, vcc
	v_readfirstlane_b32 s52, v6
	v_readfirstlane_b32 s2, v5
	s_mul_i32 s3, s24, s52
	s_mul_hi_u32 s54, s24, s2
	s_mul_i32 s53, s47, s2
	s_add_i32 s3, s54, s3
	s_add_i32 s3, s3, s53
	s_mul_i32 s55, s24, s2
	s_mul_i32 s54, s2, s3
	s_mul_hi_u32 s56, s2, s55
	s_mul_hi_u32 s53, s2, s3
	s_add_u32 s54, s56, s54
	s_addc_u32 s53, 0, s53
	s_mul_hi_u32 s57, s52, s55
	s_mul_i32 s55, s52, s55
	s_add_u32 s54, s54, s55
	s_mul_hi_u32 s56, s52, s3
	s_addc_u32 s53, s53, s57
	s_addc_u32 s54, s56, 0
	s_mul_i32 s3, s52, s3
	s_add_u32 s3, s53, s3
	s_addc_u32 s53, 0, s54
	s_add_u32 s54, s2, s3
	s_cselect_b64 s[2:3], -1, 0
	s_cmp_lg_u64 s[2:3], 0
	s_addc_u32 s52, s52, s53
	s_mul_i32 s2, s24, s52
	s_mul_hi_u32 s3, s24, s54
	s_add_i32 s2, s3, s2
	s_mul_i32 s47, s47, s54
	s_add_i32 s2, s2, s47
	s_mul_i32 s24, s24, s54
	s_mul_hi_u32 s47, s52, s24
	s_mul_i32 s53, s52, s24
	s_mul_i32 s56, s54, s2
	s_mul_hi_u32 s24, s54, s24
	s_mul_hi_u32 s55, s54, s2
	s_add_u32 s24, s24, s56
	s_addc_u32 s55, 0, s55
	s_add_u32 s24, s24, s53
	s_mul_hi_u32 s3, s52, s2
	s_addc_u32 s24, s55, s47
	s_addc_u32 s3, s3, 0
	s_mul_i32 s2, s52, s2
	s_add_u32 s2, s24, s2
	s_addc_u32 s24, 0, s3
	s_add_u32 s47, s54, s2
	s_cselect_b64 s[2:3], -1, 0
	s_cmp_lg_u64 s[2:3], 0
	s_addc_u32 s24, s52, s24
	v_mad_u64_u32 v[5:6], s[2:3], v1, s24, 0
	v_mul_hi_u32 v8, v1, s47
	v_xor_b32_e32 v10, v7, v9
	v_add_co_u32_e32 v12, vcc, v8, v5
	v_addc_co_u32_e32 v13, vcc, 0, v6, vcc
	v_mad_u64_u32 v[5:6], s[2:3], v10, s47, 0
	v_mad_u64_u32 v[7:8], s[2:3], v10, s24, 0
	v_add_co_u32_e32 v5, vcc, v12, v5
	v_addc_co_u32_e32 v5, vcc, v13, v6, vcc
	v_addc_co_u32_e32 v6, vcc, 0, v8, vcc
	v_add_co_u32_e32 v7, vcc, v5, v7
	v_addc_co_u32_e32 v8, vcc, 0, v6, vcc
	v_mul_lo_u32 v12, s49, v7
	v_mul_lo_u32 v13, s48, v8
	v_mad_u64_u32 v[5:6], s[2:3], s48, v7, 0
	v_add3_u32 v6, v6, v13, v12
	v_sub_u32_e32 v12, v10, v6
	v_mov_b32_e32 v13, s49
	v_sub_co_u32_e32 v1, vcc, v1, v5
	v_subb_co_u32_e64 v5, s[2:3], v12, v13, vcc
	v_subrev_co_u32_e64 v12, s[2:3], s48, v1
	v_subbrev_co_u32_e64 v5, s[2:3], 0, v5, s[2:3]
	v_cmp_le_u32_e64 s[2:3], s49, v5
	v_cndmask_b32_e64 v13, 0, -1, s[2:3]
	v_cmp_le_u32_e64 s[2:3], s48, v12
	v_cndmask_b32_e64 v12, 0, -1, s[2:3]
	v_cmp_eq_u32_e64 s[2:3], s49, v5
	v_cndmask_b32_e64 v5, v13, v12, s[2:3]
	v_add_co_u32_e64 v12, s[2:3], 2, v7
	v_subb_co_u32_e32 v6, vcc, v10, v6, vcc
	v_addc_co_u32_e64 v13, s[2:3], 0, v8, s[2:3]
	v_cmp_le_u32_e32 vcc, s49, v6
	v_add_co_u32_e64 v14, s[2:3], 1, v7
	v_cndmask_b32_e64 v10, 0, -1, vcc
	v_cmp_le_u32_e32 vcc, s48, v1
	v_addc_co_u32_e64 v15, s[2:3], 0, v8, s[2:3]
	v_cndmask_b32_e64 v1, 0, -1, vcc
	v_cmp_eq_u32_e32 vcc, s49, v6
	v_cmp_ne_u32_e64 s[2:3], 0, v5
	v_cndmask_b32_e32 v1, v10, v1, vcc
	v_cndmask_b32_e64 v5, v15, v13, s[2:3]
	v_cmp_ne_u32_e32 vcc, 0, v1
	v_cndmask_b32_e32 v1, v8, v5, vcc
	v_cndmask_b32_e64 v5, v14, v12, s[2:3]
	v_cndmask_b32_e32 v5, v7, v5, vcc
	v_xor_b32_e32 v6, s46, v9
	v_xor_b32_e32 v5, v5, v6
	;; [unrolled: 1-line block ×3, first 2 shown]
	v_sub_co_u32_e32 v5, vcc, v5, v6
	v_subb_co_u32_e32 v6, vcc, v1, v6, vcc
                                        ; implicit-def: $vgpr1
.LBB2_65:
	s_andn2_saveexec_b64 s[2:3], s[44:45]
	s_cbranch_execz .LBB2_67
; %bb.66:
	v_cvt_f32_u32_e32 v5, s16
	s_sub_i32 s24, 0, s16
	v_rcp_iflag_f32_e32 v5, v5
	v_mul_f32_e32 v5, 0x4f7ffffe, v5
	v_cvt_u32_f32_e32 v5, v5
	v_mul_lo_u32 v6, s24, v5
	v_mul_hi_u32 v6, v5, v6
	v_add_u32_e32 v5, v5, v6
	v_mul_hi_u32 v5, v1, v5
	v_mul_lo_u32 v6, v5, s16
	v_add_u32_e32 v7, 1, v5
	v_sub_u32_e32 v1, v1, v6
	v_subrev_u32_e32 v6, s16, v1
	v_cmp_le_u32_e32 vcc, s16, v1
	v_cndmask_b32_e32 v1, v1, v6, vcc
	v_cndmask_b32_e32 v5, v5, v7, vcc
	v_add_u32_e32 v6, 1, v5
	v_cmp_le_u32_e32 vcc, s16, v1
	v_cndmask_b32_e32 v5, v5, v6, vcc
	v_mov_b32_e32 v6, 0
.LBB2_67:
	s_or_b64 exec, exec, s[2:3]
.LBB2_68:
	s_or_b64 exec, exec, s[42:43]
	v_or_b32_e32 v8, s17, v4
	v_mov_b32_e32 v7, 0
	v_cmp_ne_u64_e32 vcc, 0, v[7:8]
                                        ; implicit-def: $vgpr7_vgpr8
	s_and_saveexec_b64 s[2:3], vcc
	s_xor_b64 s[42:43], exec, s[2:3]
	s_cbranch_execz .LBB2_70
; %bb.69:
	s_ashr_i32 s44, s17, 31
	s_add_u32 s2, s16, s44
	s_mov_b32 s45, s44
	s_addc_u32 s3, s17, s44
	s_xor_b64 s[46:47], s[2:3], s[44:45]
	v_cvt_f32_u32_e32 v1, s46
	v_cvt_f32_u32_e32 v7, s47
	s_sub_u32 s24, 0, s46
	s_subb_u32 s45, 0, s47
	v_madmk_f32 v1, v7, 0x4f800000, v1
	v_rcp_f32_e32 v1, v1
	v_mul_f32_e32 v1, 0x5f7ffffc, v1
	v_mul_f32_e32 v7, 0x2f800000, v1
	v_trunc_f32_e32 v7, v7
	v_madmk_f32 v1, v7, 0xcf800000, v1
	v_cvt_u32_f32_e32 v7, v7
	v_cvt_u32_f32_e32 v1, v1
	v_readfirstlane_b32 s48, v7
	v_readfirstlane_b32 s2, v1
	s_mul_i32 s3, s24, s48
	s_mul_hi_u32 s52, s24, s2
	s_mul_i32 s49, s45, s2
	s_add_i32 s3, s52, s3
	s_add_i32 s3, s3, s49
	s_mul_i32 s53, s24, s2
	s_mul_i32 s52, s2, s3
	s_mul_hi_u32 s54, s2, s53
	s_mul_hi_u32 s49, s2, s3
	s_add_u32 s52, s54, s52
	s_addc_u32 s49, 0, s49
	s_mul_hi_u32 s55, s48, s53
	s_mul_i32 s53, s48, s53
	s_add_u32 s52, s52, s53
	s_mul_hi_u32 s54, s48, s3
	s_addc_u32 s49, s49, s55
	s_addc_u32 s52, s54, 0
	s_mul_i32 s3, s48, s3
	s_add_u32 s3, s49, s3
	s_addc_u32 s49, 0, s52
	s_add_u32 s52, s2, s3
	s_cselect_b64 s[2:3], -1, 0
	s_cmp_lg_u64 s[2:3], 0
	s_addc_u32 s48, s48, s49
	s_mul_i32 s2, s24, s48
	s_mul_hi_u32 s3, s24, s52
	s_add_i32 s2, s3, s2
	s_mul_i32 s45, s45, s52
	s_add_i32 s2, s2, s45
	s_mul_i32 s24, s24, s52
	s_mul_hi_u32 s45, s48, s24
	s_mul_i32 s49, s48, s24
	s_mul_i32 s54, s52, s2
	s_mul_hi_u32 s24, s52, s24
	s_mul_hi_u32 s53, s52, s2
	s_add_u32 s24, s24, s54
	s_addc_u32 s53, 0, s53
	s_add_u32 s24, s24, s49
	s_mul_hi_u32 s3, s48, s2
	s_addc_u32 s24, s53, s45
	s_addc_u32 s3, s3, 0
	s_mul_i32 s2, s48, s2
	s_add_u32 s2, s24, s2
	s_addc_u32 s24, 0, s3
	s_add_u32 s45, s52, s2
	s_cselect_b64 s[2:3], -1, 0
	v_ashrrev_i32_e32 v1, 31, v4
	s_cmp_lg_u64 s[2:3], 0
	v_add_co_u32_e32 v7, vcc, v3, v1
	s_addc_u32 s24, s48, s24
	v_xor_b32_e32 v12, v7, v1
	v_mad_u64_u32 v[7:8], s[2:3], v12, s24, 0
	v_mul_hi_u32 v10, v12, s45
	v_addc_co_u32_e32 v9, vcc, v4, v1, vcc
	v_xor_b32_e32 v13, v9, v1
	v_add_co_u32_e32 v14, vcc, v10, v7
	v_addc_co_u32_e32 v15, vcc, 0, v8, vcc
	v_mad_u64_u32 v[7:8], s[2:3], v13, s45, 0
	v_mad_u64_u32 v[9:10], s[2:3], v13, s24, 0
	v_add_co_u32_e32 v7, vcc, v14, v7
	v_addc_co_u32_e32 v7, vcc, v15, v8, vcc
	v_addc_co_u32_e32 v8, vcc, 0, v10, vcc
	v_add_co_u32_e32 v9, vcc, v7, v9
	v_addc_co_u32_e32 v10, vcc, 0, v8, vcc
	v_mul_lo_u32 v14, s47, v9
	v_mul_lo_u32 v15, s46, v10
	v_mad_u64_u32 v[7:8], s[2:3], s46, v9, 0
	v_xor_b32_e32 v1, s44, v1
	v_add3_u32 v8, v8, v15, v14
	v_sub_u32_e32 v14, v13, v8
	v_mov_b32_e32 v15, s47
	v_sub_co_u32_e32 v7, vcc, v12, v7
	v_subb_co_u32_e64 v12, s[2:3], v14, v15, vcc
	v_subrev_co_u32_e64 v14, s[2:3], s46, v7
	v_subbrev_co_u32_e64 v12, s[2:3], 0, v12, s[2:3]
	v_cmp_le_u32_e64 s[2:3], s47, v12
	v_cndmask_b32_e64 v15, 0, -1, s[2:3]
	v_cmp_le_u32_e64 s[2:3], s46, v14
	v_cndmask_b32_e64 v14, 0, -1, s[2:3]
	v_cmp_eq_u32_e64 s[2:3], s47, v12
	v_cndmask_b32_e64 v12, v15, v14, s[2:3]
	v_add_co_u32_e64 v14, s[2:3], 2, v9
	v_subb_co_u32_e32 v8, vcc, v13, v8, vcc
	v_addc_co_u32_e64 v15, s[2:3], 0, v10, s[2:3]
	v_cmp_le_u32_e32 vcc, s47, v8
	v_add_co_u32_e64 v16, s[2:3], 1, v9
	v_cndmask_b32_e64 v13, 0, -1, vcc
	v_cmp_le_u32_e32 vcc, s46, v7
	v_addc_co_u32_e64 v17, s[2:3], 0, v10, s[2:3]
	v_cndmask_b32_e64 v7, 0, -1, vcc
	v_cmp_eq_u32_e32 vcc, s47, v8
	v_cmp_ne_u32_e64 s[2:3], 0, v12
	v_cndmask_b32_e32 v7, v13, v7, vcc
	v_cndmask_b32_e64 v12, v17, v15, s[2:3]
	v_cmp_ne_u32_e32 vcc, 0, v7
	v_cndmask_b32_e64 v8, v16, v14, s[2:3]
	v_cndmask_b32_e32 v7, v10, v12, vcc
	v_cndmask_b32_e32 v8, v9, v8, vcc
	v_xor_b32_e32 v9, v7, v1
	v_xor_b32_e32 v7, v8, v1
	v_sub_co_u32_e32 v7, vcc, v7, v1
	v_subb_co_u32_e32 v8, vcc, v9, v1, vcc
.LBB2_70:
	s_andn2_saveexec_b64 s[2:3], s[42:43]
	s_cbranch_execz .LBB2_72
; %bb.71:
	v_cvt_f32_u32_e32 v1, s16
	s_sub_i32 s24, 0, s16
	v_rcp_iflag_f32_e32 v1, v1
	v_mul_f32_e32 v1, 0x4f7ffffe, v1
	v_cvt_u32_f32_e32 v1, v1
	v_mul_lo_u32 v7, s24, v1
	v_mul_hi_u32 v7, v1, v7
	v_add_u32_e32 v1, v1, v7
	v_mul_hi_u32 v1, v3, v1
	v_mul_lo_u32 v7, v1, s16
	v_add_u32_e32 v8, 1, v1
	v_sub_u32_e32 v7, v3, v7
	v_subrev_u32_e32 v9, s16, v7
	v_cmp_le_u32_e32 vcc, s16, v7
	v_cndmask_b32_e32 v7, v7, v9, vcc
	v_cndmask_b32_e32 v1, v1, v8, vcc
	v_add_u32_e32 v8, 1, v1
	v_cmp_le_u32_e32 vcc, s16, v7
	v_cndmask_b32_e32 v7, v1, v8, vcc
	v_mov_b32_e32 v8, 0
.LBB2_72:
	s_or_b64 exec, exec, s[2:3]
	v_mul_lo_u32 v1, v6, s16
	v_mul_lo_u32 v12, v5, s17
	v_mad_u64_u32 v[9:10], s[2:3], v5, s16, 0
	v_add3_u32 v10, v10, v12, v1
	v_cmp_gt_i64_e32 vcc, v[9:10], v[3:4]
	v_mov_b32_e32 v1, s15
	v_add_co_u32_e64 v9, s[2:3], s14, v9
	v_addc_co_u32_e64 v10, s[2:3], v10, v1, s[2:3]
	v_cmp_ge_i64_e64 s[2:3], v[3:4], v[9:10]
	s_or_b64 s[2:3], vcc, s[2:3]
	v_cndmask_b32_e64 v1, 0, 1, s[2:3]
	v_add_co_u32_e32 v9, vcc, v5, v1
	v_addc_co_u32_e32 v10, vcc, 0, v6, vcc
	v_cmp_gt_i64_e32 vcc, s[4:5], v[7:8]
	v_mov_b32_e32 v1, s5
	v_cndmask_b32_e32 v6, v1, v8, vcc
	v_mov_b32_e32 v1, s4
	v_cndmask_b32_e32 v5, v1, v7, vcc
	v_cmp_le_i64_e32 vcc, v[9:10], v[5:6]
	s_and_saveexec_b64 s[42:43], vcc
	s_cbranch_execz .LBB2_75
; %bb.73:
	global_load_dword v12, v2, s[8:9]
	v_mul_lo_u32 v14, s17, v9
	v_mul_lo_u32 v15, s16, v10
	v_mad_u64_u32 v[7:8], s[2:3], s16, v9, 0
	v_mov_b32_e32 v13, s9
	v_add_co_u32_e32 v1, vcc, s8, v2
	v_addc_co_u32_e32 v2, vcc, 0, v13, vcc
	v_add3_u32 v8, v8, v15, v14
	v_sub_co_u32_e32 v3, vcc, v3, v7
	v_subb_co_u32_e32 v4, vcc, v4, v8, vcc
	v_mul_lo_u32 v15, s23, v3
	v_mul_lo_u32 v16, s22, v4
	v_mad_u64_u32 v[7:8], s[2:3], s22, v3, 0
	v_mul_lo_u32 v17, s21, v9
	v_mul_lo_u32 v18, s20, v10
	v_mad_u64_u32 v[13:14], s[2:3], s20, v9, 0
	v_add_co_u32_e32 v3, vcc, -1, v9
	v_add3_u32 v8, v8, v16, v15
	v_add3_u32 v14, v14, v18, v17
	v_addc_co_u32_e32 v4, vcc, -1, v10, vcc
	v_lshlrev_b64 v[7:8], 2, v[7:8]
	v_lshlrev_b64 v[9:10], 2, v[13:14]
	s_mul_i32 s24, s16, s23
	v_add_co_u32_e32 v7, vcc, v7, v9
	s_mul_hi_u32 s44, s16, s22
	v_addc_co_u32_e32 v8, vcc, v8, v10, vcc
	s_add_i32 s24, s44, s24
	s_mul_i32 s44, s17, s22
	v_add_co_u32_e32 v0, vcc, v7, v0
	s_add_i32 s45, s24, s44
	s_mul_i32 s44, s16, s22
	v_addc_co_u32_e32 v8, vcc, 0, v8, vcc
	s_lshl_b64 s[2:3], s[20:21], 2
	s_lshl_b64 s[44:45], s[44:45], 2
	v_mov_b32_e32 v9, s11
	v_add_co_u32_e32 v7, vcc, s10, v0
	s_sub_u32 s24, s2, s44
	v_addc_co_u32_e32 v8, vcc, v9, v8, vcc
	s_subb_u32 s46, s3, s45
	s_mov_b64 s[44:45], 0
.LBB2_74:                               ; =>This Inner Loop Header: Depth=1
	global_load_dword v0, v[7:8], off
	v_add_co_u32_e32 v3, vcc, 1, v3
	v_addc_co_u32_e32 v4, vcc, 0, v4, vcc
	v_cmp_ge_i64_e64 s[2:3], v[3:4], v[5:6]
	v_mov_b32_e32 v9, s46
	v_add_co_u32_e32 v7, vcc, s24, v7
	v_addc_co_u32_e32 v8, vcc, v8, v9, vcc
	s_or_b64 s[44:45], s[2:3], s[44:45]
	s_waitcnt vmcnt(0)
	v_add_u32_e32 v12, v0, v12
	global_store_dword v[1:2], v12, off
	s_andn2_b64 exec, exec, s[44:45]
	s_cbranch_execnz .LBB2_74
.LBB2_75:
	s_or_b64 exec, exec, s[42:43]
	v_add_u32_e32 v11, 0x100, v11
	s_or_b64 exec, exec, s[18:19]
	v_cmp_gt_i32_e32 vcc, s51, v11
	s_and_saveexec_b64 s[2:3], vcc
	s_cbranch_execz .LBB2_99
.LBB2_76:
	s_and_b64 vcc, exec, s[0:1]
	s_cbranch_vccnz .LBB2_83
; %bb.77:
	v_mov_b32_e32 v2, 0
	s_andn2_b64 vcc, exec, s[40:41]
	v_mov_b32_e32 v0, 0
	v_mov_b32_e32 v4, 0
	s_cbranch_vccnz .LBB2_82
; %bb.78:
	s_add_i32 s0, s31, 1
	s_and_b32 s2, s0, 30
	s_add_u32 s0, s33, 0xffffffe8
	s_addc_u32 s1, s50, -1
	v_mov_b32_e32 v4, 0
	v_mov_b32_e32 v0, 0
	v_mov_b32_e32 v2, 0
	v_mov_b32_e32 v1, v11
.LBB2_79:                               ; =>This Inner Loop Header: Depth=1
	s_load_dwordx4 s[40:43], s[0:1], 0x1c
	s_load_dwordx2 s[18:19], s[0:1], 0x2c
	s_load_dwordx2 s[48:49], s[0:1], 0xec
	s_load_dwordx4 s[44:47], s[0:1], 0xdc
	s_add_u32 s0, s0, 24
	s_waitcnt lgkmcnt(0)
	v_mul_hi_u32 v3, s41, v1
	s_addc_u32 s1, s1, 0
	s_add_i32 s2, s2, -2
	s_cmp_eq_u32 s2, 0
	v_add_u32_e32 v3, v1, v3
	v_lshrrev_b32_e32 v3, s42, v3
	v_mul_lo_u32 v5, v3, s40
	v_mul_hi_u32 v6, s18, v3
	v_sub_u32_e32 v5, v1, v5
	v_add_u32_e32 v1, v3, v6
	v_lshrrev_b32_e32 v1, s19, v1
	v_mul_lo_u32 v8, v1, s43
	v_mul_lo_u32 v6, v5, s44
	;; [unrolled: 1-line block ×4, first 2 shown]
	v_sub_u32_e32 v3, v3, v8
	v_mul_lo_u32 v8, v3, s47
	v_mul_lo_u32 v9, v3, s48
	;; [unrolled: 1-line block ×3, first 2 shown]
	v_add3_u32 v2, v6, v2, v8
	v_add3_u32 v0, v7, v0, v9
	;; [unrolled: 1-line block ×3, first 2 shown]
	s_cbranch_scc0 .LBB2_79
; %bb.80:
	s_bitcmp1_b32 s31, 0
	s_cselect_b64 s[2:3], -1, 0
	s_and_b64 vcc, exec, s[2:3]
	s_cbranch_vccnz .LBB2_82
; %bb.81:
	s_load_dwordx2 s[2:3], s[0:1], 0x1c
	s_load_dword s24, s[0:1], 0x24
	s_load_dwordx2 s[18:19], s[0:1], 0xdc
	s_waitcnt lgkmcnt(0)
	v_mul_hi_u32 v3, s3, v1
	v_add_u32_e32 v3, v1, v3
	v_lshrrev_b32_e32 v3, s24, v3
	v_mul_lo_u32 v3, v3, s2
	s_load_dword s2, s[0:1], 0xe4
	v_sub_u32_e32 v5, v1, v3
	v_mad_u64_u32 v[2:3], s[0:1], v5, s18, v[2:3]
	v_mad_u64_u32 v[0:1], s[0:1], v5, s19, v[0:1]
	s_waitcnt lgkmcnt(0)
	v_mad_u64_u32 v[4:5], s[0:1], v5, s2, v[4:5]
.LBB2_82:
	s_cbranch_execz .LBB2_84
	s_branch .LBB2_86
.LBB2_83:
                                        ; implicit-def: $vgpr2
                                        ; implicit-def: $vgpr0
                                        ; implicit-def: $vgpr4
.LBB2_84:
	v_mul_hi_u32 v0, s26, v11
	s_andn2_b64 vcc, exec, s[34:35]
	v_add_u32_e32 v0, v11, v0
	v_lshrrev_b32_e32 v1, s27, v0
	v_mul_lo_u32 v0, v1, s25
	v_sub_u32_e32 v3, v11, v0
	v_mul_lo_u32 v2, v3, s36
	v_mul_lo_u32 v0, v3, s37
	;; [unrolled: 1-line block ×3, first 2 shown]
	s_cbranch_vccnz .LBB2_86
; %bb.85:
	v_mul_hi_u32 v3, s29, v1
	v_add_u32_e32 v3, v1, v3
	v_lshrrev_b32_e32 v3, s30, v3
	v_mul_lo_u32 v3, v3, s28
	v_sub_u32_e32 v5, v1, v3
	v_mad_u64_u32 v[2:3], s[0:1], v5, s39, v[2:3]
	v_mad_u64_u32 v[0:1], s[0:1], v5, s6, v[0:1]
	;; [unrolled: 1-line block ×3, first 2 shown]
.LBB2_86:
	global_load_dwordx2 v[3:4], v4, s[12:13]
	v_mov_b32_e32 v5, 0
	v_mov_b32_e32 v6, 0
	s_waitcnt vmcnt(0)
	v_cmp_lt_i64_e32 vcc, s[14:15], v[3:4]
	s_and_saveexec_b64 s[2:3], vcc
	s_cbranch_execz .LBB2_92
; %bb.87:
	v_mov_b32_e32 v5, s15
	v_subrev_co_u32_e32 v1, vcc, s14, v3
	v_subb_co_u32_e32 v7, vcc, v4, v5, vcc
	v_or_b32_e32 v6, s17, v7
	v_mov_b32_e32 v5, 0
	v_cmp_ne_u64_e32 vcc, 0, v[5:6]
                                        ; implicit-def: $vgpr5_vgpr6
	s_and_saveexec_b64 s[0:1], vcc
	s_xor_b64 s[6:7], exec, s[0:1]
	s_cbranch_execz .LBB2_89
; %bb.88:
	s_ashr_i32 s12, s17, 31
	s_add_u32 s0, s16, s12
	s_mov_b32 s13, s12
	s_addc_u32 s1, s17, s12
	s_xor_b64 s[18:19], s[0:1], s[12:13]
	v_cvt_f32_u32_e32 v5, s18
	v_cvt_f32_u32_e32 v6, s19
	s_sub_u32 s13, 0, s18
	s_subb_u32 s24, 0, s19
	v_ashrrev_i32_e32 v9, 31, v7
	v_madmk_f32 v5, v6, 0x4f800000, v5
	v_rcp_f32_e32 v5, v5
	v_add_co_u32_e32 v1, vcc, v1, v9
	v_xor_b32_e32 v1, v1, v9
	v_mul_f32_e32 v5, 0x5f7ffffc, v5
	v_mul_f32_e32 v6, 0x2f800000, v5
	v_trunc_f32_e32 v6, v6
	v_madmk_f32 v5, v6, 0xcf800000, v5
	v_cvt_u32_f32_e32 v6, v6
	v_cvt_u32_f32_e32 v5, v5
	v_addc_co_u32_e32 v7, vcc, v7, v9, vcc
	v_readfirstlane_b32 s25, v6
	v_readfirstlane_b32 s0, v5
	s_mul_i32 s1, s13, s25
	s_mul_hi_u32 s27, s13, s0
	s_mul_i32 s26, s24, s0
	s_add_i32 s1, s27, s1
	s_add_i32 s1, s1, s26
	s_mul_i32 s28, s13, s0
	s_mul_i32 s27, s0, s1
	s_mul_hi_u32 s29, s0, s28
	s_mul_hi_u32 s26, s0, s1
	s_add_u32 s27, s29, s27
	s_addc_u32 s26, 0, s26
	s_mul_hi_u32 s30, s25, s28
	s_mul_i32 s28, s25, s28
	s_add_u32 s27, s27, s28
	s_mul_hi_u32 s29, s25, s1
	s_addc_u32 s26, s26, s30
	s_addc_u32 s27, s29, 0
	s_mul_i32 s1, s25, s1
	s_add_u32 s1, s26, s1
	s_addc_u32 s26, 0, s27
	s_add_u32 s27, s0, s1
	s_cselect_b64 s[0:1], -1, 0
	s_cmp_lg_u64 s[0:1], 0
	s_addc_u32 s25, s25, s26
	s_mul_i32 s0, s13, s25
	s_mul_hi_u32 s1, s13, s27
	s_add_i32 s0, s1, s0
	s_mul_i32 s24, s24, s27
	s_add_i32 s0, s0, s24
	s_mul_i32 s13, s13, s27
	s_mul_hi_u32 s24, s25, s13
	s_mul_i32 s26, s25, s13
	s_mul_i32 s29, s27, s0
	s_mul_hi_u32 s13, s27, s13
	s_mul_hi_u32 s28, s27, s0
	s_add_u32 s13, s13, s29
	s_addc_u32 s28, 0, s28
	s_add_u32 s13, s13, s26
	s_mul_hi_u32 s1, s25, s0
	s_addc_u32 s13, s28, s24
	s_addc_u32 s1, s1, 0
	s_mul_i32 s0, s25, s0
	s_add_u32 s0, s13, s0
	s_addc_u32 s13, 0, s1
	s_add_u32 s24, s27, s0
	s_cselect_b64 s[0:1], -1, 0
	s_cmp_lg_u64 s[0:1], 0
	s_addc_u32 s13, s25, s13
	v_mad_u64_u32 v[5:6], s[0:1], v1, s13, 0
	v_mul_hi_u32 v8, v1, s24
	v_xor_b32_e32 v10, v7, v9
	v_add_co_u32_e32 v11, vcc, v8, v5
	v_addc_co_u32_e32 v12, vcc, 0, v6, vcc
	v_mad_u64_u32 v[5:6], s[0:1], v10, s24, 0
	v_mad_u64_u32 v[7:8], s[0:1], v10, s13, 0
	v_add_co_u32_e32 v5, vcc, v11, v5
	v_addc_co_u32_e32 v5, vcc, v12, v6, vcc
	v_addc_co_u32_e32 v6, vcc, 0, v8, vcc
	v_add_co_u32_e32 v7, vcc, v5, v7
	v_addc_co_u32_e32 v8, vcc, 0, v6, vcc
	v_mul_lo_u32 v11, s19, v7
	v_mul_lo_u32 v12, s18, v8
	v_mad_u64_u32 v[5:6], s[0:1], s18, v7, 0
	v_add3_u32 v6, v6, v12, v11
	v_sub_u32_e32 v11, v10, v6
	v_mov_b32_e32 v12, s19
	v_sub_co_u32_e32 v1, vcc, v1, v5
	v_subb_co_u32_e64 v5, s[0:1], v11, v12, vcc
	v_subrev_co_u32_e64 v11, s[0:1], s18, v1
	v_subbrev_co_u32_e64 v5, s[0:1], 0, v5, s[0:1]
	v_cmp_le_u32_e64 s[0:1], s19, v5
	v_cndmask_b32_e64 v12, 0, -1, s[0:1]
	v_cmp_le_u32_e64 s[0:1], s18, v11
	v_cndmask_b32_e64 v11, 0, -1, s[0:1]
	v_cmp_eq_u32_e64 s[0:1], s19, v5
	v_cndmask_b32_e64 v5, v12, v11, s[0:1]
	v_add_co_u32_e64 v11, s[0:1], 2, v7
	v_subb_co_u32_e32 v6, vcc, v10, v6, vcc
	v_addc_co_u32_e64 v12, s[0:1], 0, v8, s[0:1]
	v_cmp_le_u32_e32 vcc, s19, v6
	v_add_co_u32_e64 v13, s[0:1], 1, v7
	v_cndmask_b32_e64 v10, 0, -1, vcc
	v_cmp_le_u32_e32 vcc, s18, v1
	v_addc_co_u32_e64 v14, s[0:1], 0, v8, s[0:1]
	v_cndmask_b32_e64 v1, 0, -1, vcc
	v_cmp_eq_u32_e32 vcc, s19, v6
	v_cmp_ne_u32_e64 s[0:1], 0, v5
	v_cndmask_b32_e32 v1, v10, v1, vcc
	v_cndmask_b32_e64 v5, v14, v12, s[0:1]
	v_cmp_ne_u32_e32 vcc, 0, v1
	v_cndmask_b32_e32 v1, v8, v5, vcc
	v_cndmask_b32_e64 v5, v13, v11, s[0:1]
	v_cndmask_b32_e32 v5, v7, v5, vcc
	v_xor_b32_e32 v6, s12, v9
	v_xor_b32_e32 v5, v5, v6
	;; [unrolled: 1-line block ×3, first 2 shown]
	v_sub_co_u32_e32 v5, vcc, v5, v6
	v_subb_co_u32_e32 v6, vcc, v1, v6, vcc
                                        ; implicit-def: $vgpr1
.LBB2_89:
	s_andn2_saveexec_b64 s[0:1], s[6:7]
	s_cbranch_execz .LBB2_91
; %bb.90:
	v_cvt_f32_u32_e32 v5, s16
	s_sub_i32 s6, 0, s16
	v_rcp_iflag_f32_e32 v5, v5
	v_mul_f32_e32 v5, 0x4f7ffffe, v5
	v_cvt_u32_f32_e32 v5, v5
	v_mul_lo_u32 v6, s6, v5
	v_mul_hi_u32 v6, v5, v6
	v_add_u32_e32 v5, v5, v6
	v_mul_hi_u32 v5, v1, v5
	v_mul_lo_u32 v6, v5, s16
	v_add_u32_e32 v7, 1, v5
	v_sub_u32_e32 v1, v1, v6
	v_subrev_u32_e32 v6, s16, v1
	v_cmp_le_u32_e32 vcc, s16, v1
	v_cndmask_b32_e32 v1, v1, v6, vcc
	v_cndmask_b32_e32 v5, v5, v7, vcc
	v_add_u32_e32 v6, 1, v5
	v_cmp_le_u32_e32 vcc, s16, v1
	v_cndmask_b32_e32 v5, v5, v6, vcc
	v_mov_b32_e32 v6, 0
.LBB2_91:
	s_or_b64 exec, exec, s[0:1]
.LBB2_92:
	s_or_b64 exec, exec, s[2:3]
	v_or_b32_e32 v8, s17, v4
	v_mov_b32_e32 v7, 0
	v_cmp_ne_u64_e32 vcc, 0, v[7:8]
                                        ; implicit-def: $vgpr7_vgpr8
	s_and_saveexec_b64 s[0:1], vcc
	s_xor_b64 s[2:3], exec, s[0:1]
	s_cbranch_execz .LBB2_94
; %bb.93:
	s_ashr_i32 s6, s17, 31
	s_add_u32 s0, s16, s6
	s_mov_b32 s7, s6
	s_addc_u32 s1, s17, s6
	s_xor_b64 s[12:13], s[0:1], s[6:7]
	v_cvt_f32_u32_e32 v1, s12
	v_cvt_f32_u32_e32 v7, s13
	s_sub_u32 s7, 0, s12
	s_subb_u32 s18, 0, s13
	v_madmk_f32 v1, v7, 0x4f800000, v1
	v_rcp_f32_e32 v1, v1
	v_mul_f32_e32 v1, 0x5f7ffffc, v1
	v_mul_f32_e32 v7, 0x2f800000, v1
	v_trunc_f32_e32 v7, v7
	v_madmk_f32 v1, v7, 0xcf800000, v1
	v_cvt_u32_f32_e32 v7, v7
	v_cvt_u32_f32_e32 v1, v1
	v_readfirstlane_b32 s19, v7
	v_readfirstlane_b32 s0, v1
	s_mul_i32 s1, s7, s19
	s_mul_hi_u32 s25, s7, s0
	s_mul_i32 s24, s18, s0
	s_add_i32 s1, s25, s1
	s_add_i32 s1, s1, s24
	s_mul_i32 s26, s7, s0
	s_mul_i32 s25, s0, s1
	s_mul_hi_u32 s27, s0, s26
	s_mul_hi_u32 s24, s0, s1
	s_add_u32 s25, s27, s25
	s_addc_u32 s24, 0, s24
	s_mul_hi_u32 s28, s19, s26
	s_mul_i32 s26, s19, s26
	s_add_u32 s25, s25, s26
	s_mul_hi_u32 s27, s19, s1
	s_addc_u32 s24, s24, s28
	s_addc_u32 s25, s27, 0
	s_mul_i32 s1, s19, s1
	s_add_u32 s1, s24, s1
	s_addc_u32 s24, 0, s25
	s_add_u32 s25, s0, s1
	s_cselect_b64 s[0:1], -1, 0
	s_cmp_lg_u64 s[0:1], 0
	s_addc_u32 s19, s19, s24
	s_mul_i32 s0, s7, s19
	s_mul_hi_u32 s1, s7, s25
	s_add_i32 s0, s1, s0
	s_mul_i32 s18, s18, s25
	s_add_i32 s0, s0, s18
	s_mul_i32 s7, s7, s25
	s_mul_hi_u32 s18, s19, s7
	s_mul_i32 s24, s19, s7
	s_mul_i32 s27, s25, s0
	s_mul_hi_u32 s7, s25, s7
	s_mul_hi_u32 s26, s25, s0
	s_add_u32 s7, s7, s27
	s_addc_u32 s26, 0, s26
	s_add_u32 s7, s7, s24
	s_mul_hi_u32 s1, s19, s0
	s_addc_u32 s7, s26, s18
	s_addc_u32 s1, s1, 0
	s_mul_i32 s0, s19, s0
	s_add_u32 s0, s7, s0
	s_addc_u32 s7, 0, s1
	s_add_u32 s18, s25, s0
	s_cselect_b64 s[0:1], -1, 0
	v_ashrrev_i32_e32 v1, 31, v4
	s_cmp_lg_u64 s[0:1], 0
	v_add_co_u32_e32 v7, vcc, v3, v1
	s_addc_u32 s7, s19, s7
	v_xor_b32_e32 v11, v7, v1
	v_mad_u64_u32 v[7:8], s[0:1], v11, s7, 0
	v_mul_hi_u32 v10, v11, s18
	v_addc_co_u32_e32 v9, vcc, v4, v1, vcc
	v_xor_b32_e32 v12, v9, v1
	v_add_co_u32_e32 v13, vcc, v10, v7
	v_addc_co_u32_e32 v14, vcc, 0, v8, vcc
	v_mad_u64_u32 v[7:8], s[0:1], v12, s18, 0
	v_mad_u64_u32 v[9:10], s[0:1], v12, s7, 0
	v_add_co_u32_e32 v7, vcc, v13, v7
	v_addc_co_u32_e32 v7, vcc, v14, v8, vcc
	v_addc_co_u32_e32 v8, vcc, 0, v10, vcc
	v_add_co_u32_e32 v9, vcc, v7, v9
	v_addc_co_u32_e32 v10, vcc, 0, v8, vcc
	v_mul_lo_u32 v13, s13, v9
	v_mul_lo_u32 v14, s12, v10
	v_mad_u64_u32 v[7:8], s[0:1], s12, v9, 0
	v_xor_b32_e32 v1, s6, v1
	v_add3_u32 v8, v8, v14, v13
	v_sub_u32_e32 v13, v12, v8
	v_mov_b32_e32 v14, s13
	v_sub_co_u32_e32 v7, vcc, v11, v7
	v_subb_co_u32_e64 v11, s[0:1], v13, v14, vcc
	v_subrev_co_u32_e64 v13, s[0:1], s12, v7
	v_subbrev_co_u32_e64 v11, s[0:1], 0, v11, s[0:1]
	v_cmp_le_u32_e64 s[0:1], s13, v11
	v_cndmask_b32_e64 v14, 0, -1, s[0:1]
	v_cmp_le_u32_e64 s[0:1], s12, v13
	v_cndmask_b32_e64 v13, 0, -1, s[0:1]
	v_cmp_eq_u32_e64 s[0:1], s13, v11
	v_cndmask_b32_e64 v11, v14, v13, s[0:1]
	v_add_co_u32_e64 v13, s[0:1], 2, v9
	v_subb_co_u32_e32 v8, vcc, v12, v8, vcc
	v_addc_co_u32_e64 v14, s[0:1], 0, v10, s[0:1]
	v_cmp_le_u32_e32 vcc, s13, v8
	v_add_co_u32_e64 v15, s[0:1], 1, v9
	v_cndmask_b32_e64 v12, 0, -1, vcc
	v_cmp_le_u32_e32 vcc, s12, v7
	v_addc_co_u32_e64 v16, s[0:1], 0, v10, s[0:1]
	v_cndmask_b32_e64 v7, 0, -1, vcc
	v_cmp_eq_u32_e32 vcc, s13, v8
	v_cmp_ne_u32_e64 s[0:1], 0, v11
	v_cndmask_b32_e32 v7, v12, v7, vcc
	v_cndmask_b32_e64 v11, v16, v14, s[0:1]
	v_cmp_ne_u32_e32 vcc, 0, v7
	v_cndmask_b32_e64 v8, v15, v13, s[0:1]
	v_cndmask_b32_e32 v7, v10, v11, vcc
	v_cndmask_b32_e32 v8, v9, v8, vcc
	v_xor_b32_e32 v9, v7, v1
	v_xor_b32_e32 v7, v8, v1
	v_sub_co_u32_e32 v7, vcc, v7, v1
	v_subb_co_u32_e32 v8, vcc, v9, v1, vcc
.LBB2_94:
	s_andn2_saveexec_b64 s[0:1], s[2:3]
	s_cbranch_execz .LBB2_96
; %bb.95:
	v_cvt_f32_u32_e32 v1, s16
	s_sub_i32 s2, 0, s16
	v_rcp_iflag_f32_e32 v1, v1
	v_mul_f32_e32 v1, 0x4f7ffffe, v1
	v_cvt_u32_f32_e32 v1, v1
	v_mul_lo_u32 v7, s2, v1
	v_mul_hi_u32 v7, v1, v7
	v_add_u32_e32 v1, v1, v7
	v_mul_hi_u32 v1, v3, v1
	v_mul_lo_u32 v7, v1, s16
	v_add_u32_e32 v8, 1, v1
	v_sub_u32_e32 v7, v3, v7
	v_subrev_u32_e32 v9, s16, v7
	v_cmp_le_u32_e32 vcc, s16, v7
	v_cndmask_b32_e32 v7, v7, v9, vcc
	v_cndmask_b32_e32 v1, v1, v8, vcc
	v_add_u32_e32 v8, 1, v1
	v_cmp_le_u32_e32 vcc, s16, v7
	v_cndmask_b32_e32 v7, v1, v8, vcc
	v_mov_b32_e32 v8, 0
.LBB2_96:
	s_or_b64 exec, exec, s[0:1]
	v_mul_lo_u32 v1, v6, s16
	v_mul_lo_u32 v11, v5, s17
	v_mad_u64_u32 v[9:10], s[0:1], v5, s16, 0
	v_add3_u32 v10, v10, v11, v1
	v_cmp_gt_i64_e32 vcc, v[9:10], v[3:4]
	v_mov_b32_e32 v1, s15
	v_add_co_u32_e64 v9, s[0:1], s14, v9
	v_addc_co_u32_e64 v10, s[0:1], v10, v1, s[0:1]
	v_cmp_ge_i64_e64 s[0:1], v[3:4], v[9:10]
	s_or_b64 s[0:1], vcc, s[0:1]
	v_cndmask_b32_e64 v1, 0, 1, s[0:1]
	v_add_co_u32_e32 v9, vcc, v5, v1
	v_addc_co_u32_e32 v10, vcc, 0, v6, vcc
	v_cmp_gt_i64_e32 vcc, s[4:5], v[7:8]
	v_mov_b32_e32 v1, s5
	v_cndmask_b32_e32 v6, v1, v8, vcc
	v_mov_b32_e32 v1, s4
	v_cndmask_b32_e32 v5, v1, v7, vcc
	v_cmp_le_i64_e32 vcc, v[9:10], v[5:6]
	s_and_b64 exec, exec, vcc
	s_cbranch_execz .LBB2_99
; %bb.97:
	global_load_dword v11, v2, s[8:9]
	v_mul_lo_u32 v13, s17, v9
	v_mul_lo_u32 v14, s16, v10
	v_mad_u64_u32 v[7:8], s[0:1], s16, v9, 0
	v_mov_b32_e32 v12, s9
	v_add_co_u32_e32 v1, vcc, s8, v2
	v_addc_co_u32_e32 v2, vcc, 0, v12, vcc
	v_add3_u32 v8, v8, v14, v13
	v_sub_co_u32_e32 v3, vcc, v3, v7
	v_subb_co_u32_e32 v4, vcc, v4, v8, vcc
	v_mul_lo_u32 v14, s23, v3
	v_mul_lo_u32 v15, s22, v4
	v_mad_u64_u32 v[7:8], s[0:1], s22, v3, 0
	v_mul_lo_u32 v16, s21, v9
	v_mul_lo_u32 v17, s20, v10
	v_mad_u64_u32 v[12:13], s[0:1], s20, v9, 0
	v_add_co_u32_e32 v3, vcc, -1, v9
	v_add3_u32 v8, v8, v15, v14
	v_add3_u32 v13, v13, v17, v16
	v_addc_co_u32_e32 v4, vcc, -1, v10, vcc
	v_lshlrev_b64 v[7:8], 2, v[7:8]
	v_lshlrev_b64 v[9:10], 2, v[12:13]
	s_mul_i32 s2, s16, s23
	v_add_co_u32_e32 v7, vcc, v7, v9
	s_mul_hi_u32 s3, s16, s22
	v_addc_co_u32_e32 v8, vcc, v8, v10, vcc
	s_add_i32 s2, s3, s2
	s_mul_i32 s3, s17, s22
	v_add_co_u32_e32 v0, vcc, v7, v0
	s_add_i32 s3, s2, s3
	s_mul_i32 s2, s16, s22
	v_addc_co_u32_e32 v8, vcc, 0, v8, vcc
	s_lshl_b64 s[0:1], s[20:21], 2
	s_lshl_b64 s[2:3], s[2:3], 2
	v_mov_b32_e32 v9, s11
	v_add_co_u32_e32 v7, vcc, s10, v0
	s_sub_u32 s4, s0, s2
	v_addc_co_u32_e32 v8, vcc, v9, v8, vcc
	s_subb_u32 s5, s1, s3
	s_mov_b64 s[2:3], 0
.LBB2_98:                               ; =>This Inner Loop Header: Depth=1
	global_load_dword v0, v[7:8], off
	v_add_co_u32_e32 v3, vcc, 1, v3
	v_addc_co_u32_e32 v4, vcc, 0, v4, vcc
	v_cmp_ge_i64_e64 s[0:1], v[3:4], v[5:6]
	v_mov_b32_e32 v9, s5
	v_add_co_u32_e32 v7, vcc, s4, v7
	v_addc_co_u32_e32 v8, vcc, v8, v9, vcc
	s_or_b64 s[2:3], s[0:1], s[2:3]
	s_waitcnt vmcnt(0)
	v_add_u32_e32 v11, v0, v11
	global_store_dword v[1:2], v11, off
	s_andn2_b64 exec, exec, s[2:3]
	s_cbranch_execnz .LBB2_98
.LBB2_99:
	s_endpgm
	.section	.rodata,"a",@progbits
	.p2align	6, 0x0
	.amdhsa_kernel _ZN2at6native12_GLOBAL__N_135_unfold_backward_elementwise_kernelILi256ELi4EZNS1_32_unfold_backward_internal_kernelIiEEvRNS_14TensorIteratorEllllllEUliE_EEviT1_
		.amdhsa_group_segment_fixed_size 0
		.amdhsa_private_segment_fixed_size 0
		.amdhsa_kernarg_size 464
		.amdhsa_user_sgpr_count 6
		.amdhsa_user_sgpr_private_segment_buffer 1
		.amdhsa_user_sgpr_dispatch_ptr 0
		.amdhsa_user_sgpr_queue_ptr 0
		.amdhsa_user_sgpr_kernarg_segment_ptr 1
		.amdhsa_user_sgpr_dispatch_id 0
		.amdhsa_user_sgpr_flat_scratch_init 0
		.amdhsa_user_sgpr_private_segment_size 0
		.amdhsa_uses_dynamic_stack 0
		.amdhsa_system_sgpr_private_segment_wavefront_offset 0
		.amdhsa_system_sgpr_workgroup_id_x 1
		.amdhsa_system_sgpr_workgroup_id_y 0
		.amdhsa_system_sgpr_workgroup_id_z 0
		.amdhsa_system_sgpr_workgroup_info 0
		.amdhsa_system_vgpr_workitem_id 0
		.amdhsa_next_free_vgpr 19
		.amdhsa_next_free_sgpr 58
		.amdhsa_reserve_vcc 1
		.amdhsa_reserve_flat_scratch 0
		.amdhsa_float_round_mode_32 0
		.amdhsa_float_round_mode_16_64 0
		.amdhsa_float_denorm_mode_32 3
		.amdhsa_float_denorm_mode_16_64 3
		.amdhsa_dx10_clamp 1
		.amdhsa_ieee_mode 1
		.amdhsa_fp16_overflow 0
		.amdhsa_exception_fp_ieee_invalid_op 0
		.amdhsa_exception_fp_denorm_src 0
		.amdhsa_exception_fp_ieee_div_zero 0
		.amdhsa_exception_fp_ieee_overflow 0
		.amdhsa_exception_fp_ieee_underflow 0
		.amdhsa_exception_fp_ieee_inexact 0
		.amdhsa_exception_int_div_zero 0
	.end_amdhsa_kernel
	.section	.text._ZN2at6native12_GLOBAL__N_135_unfold_backward_elementwise_kernelILi256ELi4EZNS1_32_unfold_backward_internal_kernelIiEEvRNS_14TensorIteratorEllllllEUliE_EEviT1_,"axG",@progbits,_ZN2at6native12_GLOBAL__N_135_unfold_backward_elementwise_kernelILi256ELi4EZNS1_32_unfold_backward_internal_kernelIiEEvRNS_14TensorIteratorEllllllEUliE_EEviT1_,comdat
.Lfunc_end2:
	.size	_ZN2at6native12_GLOBAL__N_135_unfold_backward_elementwise_kernelILi256ELi4EZNS1_32_unfold_backward_internal_kernelIiEEvRNS_14TensorIteratorEllllllEUliE_EEviT1_, .Lfunc_end2-_ZN2at6native12_GLOBAL__N_135_unfold_backward_elementwise_kernelILi256ELi4EZNS1_32_unfold_backward_internal_kernelIiEEvRNS_14TensorIteratorEllllllEUliE_EEviT1_
                                        ; -- End function
	.set _ZN2at6native12_GLOBAL__N_135_unfold_backward_elementwise_kernelILi256ELi4EZNS1_32_unfold_backward_internal_kernelIiEEvRNS_14TensorIteratorEllllllEUliE_EEviT1_.num_vgpr, 19
	.set _ZN2at6native12_GLOBAL__N_135_unfold_backward_elementwise_kernelILi256ELi4EZNS1_32_unfold_backward_internal_kernelIiEEvRNS_14TensorIteratorEllllllEUliE_EEviT1_.num_agpr, 0
	.set _ZN2at6native12_GLOBAL__N_135_unfold_backward_elementwise_kernelILi256ELi4EZNS1_32_unfold_backward_internal_kernelIiEEvRNS_14TensorIteratorEllllllEUliE_EEviT1_.numbered_sgpr, 58
	.set _ZN2at6native12_GLOBAL__N_135_unfold_backward_elementwise_kernelILi256ELi4EZNS1_32_unfold_backward_internal_kernelIiEEvRNS_14TensorIteratorEllllllEUliE_EEviT1_.num_named_barrier, 0
	.set _ZN2at6native12_GLOBAL__N_135_unfold_backward_elementwise_kernelILi256ELi4EZNS1_32_unfold_backward_internal_kernelIiEEvRNS_14TensorIteratorEllllllEUliE_EEviT1_.private_seg_size, 0
	.set _ZN2at6native12_GLOBAL__N_135_unfold_backward_elementwise_kernelILi256ELi4EZNS1_32_unfold_backward_internal_kernelIiEEvRNS_14TensorIteratorEllllllEUliE_EEviT1_.uses_vcc, 1
	.set _ZN2at6native12_GLOBAL__N_135_unfold_backward_elementwise_kernelILi256ELi4EZNS1_32_unfold_backward_internal_kernelIiEEvRNS_14TensorIteratorEllllllEUliE_EEviT1_.uses_flat_scratch, 0
	.set _ZN2at6native12_GLOBAL__N_135_unfold_backward_elementwise_kernelILi256ELi4EZNS1_32_unfold_backward_internal_kernelIiEEvRNS_14TensorIteratorEllllllEUliE_EEviT1_.has_dyn_sized_stack, 0
	.set _ZN2at6native12_GLOBAL__N_135_unfold_backward_elementwise_kernelILi256ELi4EZNS1_32_unfold_backward_internal_kernelIiEEvRNS_14TensorIteratorEllllllEUliE_EEviT1_.has_recursion, 0
	.set _ZN2at6native12_GLOBAL__N_135_unfold_backward_elementwise_kernelILi256ELi4EZNS1_32_unfold_backward_internal_kernelIiEEvRNS_14TensorIteratorEllllllEUliE_EEviT1_.has_indirect_call, 0
	.section	.AMDGPU.csdata,"",@progbits
; Kernel info:
; codeLenInByte = 9960
; TotalNumSgprs: 62
; NumVgprs: 19
; ScratchSize: 0
; MemoryBound: 0
; FloatMode: 240
; IeeeMode: 1
; LDSByteSize: 0 bytes/workgroup (compile time only)
; SGPRBlocks: 7
; VGPRBlocks: 4
; NumSGPRsForWavesPerEU: 62
; NumVGPRsForWavesPerEU: 19
; Occupancy: 10
; WaveLimiterHint : 1
; COMPUTE_PGM_RSRC2:SCRATCH_EN: 0
; COMPUTE_PGM_RSRC2:USER_SGPR: 6
; COMPUTE_PGM_RSRC2:TRAP_HANDLER: 0
; COMPUTE_PGM_RSRC2:TGID_X_EN: 1
; COMPUTE_PGM_RSRC2:TGID_Y_EN: 0
; COMPUTE_PGM_RSRC2:TGID_Z_EN: 0
; COMPUTE_PGM_RSRC2:TIDIG_COMP_CNT: 0
	.section	.text._ZN2at6native12_GLOBAL__N_135_unfold_backward_elementwise_kernelILi256ELi4EZNS1_32_unfold_backward_internal_kernelIlEEvRNS_14TensorIteratorEllllllEUliE_EEviT1_,"axG",@progbits,_ZN2at6native12_GLOBAL__N_135_unfold_backward_elementwise_kernelILi256ELi4EZNS1_32_unfold_backward_internal_kernelIlEEvRNS_14TensorIteratorEllllllEUliE_EEviT1_,comdat
	.globl	_ZN2at6native12_GLOBAL__N_135_unfold_backward_elementwise_kernelILi256ELi4EZNS1_32_unfold_backward_internal_kernelIlEEvRNS_14TensorIteratorEllllllEUliE_EEviT1_ ; -- Begin function _ZN2at6native12_GLOBAL__N_135_unfold_backward_elementwise_kernelILi256ELi4EZNS1_32_unfold_backward_internal_kernelIlEEvRNS_14TensorIteratorEllllllEUliE_EEviT1_
	.p2align	8
	.type	_ZN2at6native12_GLOBAL__N_135_unfold_backward_elementwise_kernelILi256ELi4EZNS1_32_unfold_backward_internal_kernelIlEEvRNS_14TensorIteratorEllllllEUliE_EEviT1_,@function
_ZN2at6native12_GLOBAL__N_135_unfold_backward_elementwise_kernelILi256ELi4EZNS1_32_unfold_backward_internal_kernelIlEEvRNS_14TensorIteratorEllllllEUliE_EEviT1_: ; @_ZN2at6native12_GLOBAL__N_135_unfold_backward_elementwise_kernelILi256ELi4EZNS1_32_unfold_backward_internal_kernelIlEEvRNS_14TensorIteratorEllllllEUliE_EEviT1_
; %bb.0:
	s_load_dword s51, s[4:5], 0x0
	s_load_dwordx8 s[24:31], s[4:5], 0x8
	s_add_u32 s33, s4, 8
	v_lshl_or_b32 v11, s6, 10, v0
	s_addc_u32 s50, s5, 0
	s_load_dwordx16 s[8:23], s[4:5], 0x190
	s_load_dwordx4 s[36:39], s[4:5], 0xcc
	s_load_dwordx2 s[6:7], s[4:5], 0xdc
	s_waitcnt lgkmcnt(0)
	v_sub_co_u32_e64 v0, s[0:1], s24, 1
	s_xor_b64 s[40:41], s[0:1], -1
	v_readfirstlane_b32 s0, v0
	s_min_u32 s31, s0, 15
	s_cmp_gt_u32 s24, 1
	v_cmp_lt_u32_e64 s[0:1], 1, v0
	s_cselect_b64 s[34:35], -1, 0
	s_add_u32 s4, s18, -1
	v_cndmask_b32_e64 v0, 0, 1, s[0:1]
	s_mov_b64 s[2:3], -1
	s_addc_u32 s5, s19, -1
	v_cmp_gt_i32_e32 vcc, s51, v11
	v_cmp_ne_u32_e64 s[0:1], 1, v0
	s_and_saveexec_b64 s[18:19], vcc
	s_cbranch_execnz .LBB3_4
; %bb.1:
	s_or_b64 exec, exec, s[18:19]
	v_cmp_gt_i32_e32 vcc, s51, v11
	s_and_saveexec_b64 s[18:19], vcc
	s_cbranch_execnz .LBB3_28
.LBB3_2:
	s_or_b64 exec, exec, s[18:19]
	v_cmp_gt_i32_e32 vcc, s51, v11
	s_and_saveexec_b64 s[18:19], vcc
	s_cbranch_execnz .LBB3_52
.LBB3_3:
	s_or_b64 exec, exec, s[18:19]
	v_cmp_gt_i32_e32 vcc, s51, v11
	s_and_saveexec_b64 s[2:3], vcc
	s_cbranch_execnz .LBB3_76
	s_branch .LBB3_99
.LBB3_4:
	s_and_b64 vcc, exec, s[0:1]
                                        ; implicit-def: $vgpr2
                                        ; implicit-def: $vgpr0
                                        ; implicit-def: $vgpr4
	s_cbranch_vccnz .LBB3_11
; %bb.5:
	v_mov_b32_e32 v2, 0
	s_andn2_b64 vcc, exec, s[40:41]
	v_mov_b32_e32 v0, 0
	v_mov_b32_e32 v4, 0
	s_cbranch_vccnz .LBB3_10
; %bb.6:
	s_add_i32 s2, s31, 1
	s_and_b32 s24, s2, 30
	s_add_u32 s2, s33, 0xffffffe8
	s_addc_u32 s3, s50, -1
	v_mov_b32_e32 v4, 0
	v_mov_b32_e32 v0, 0
	;; [unrolled: 1-line block ×4, first 2 shown]
.LBB3_7:                                ; =>This Inner Loop Header: Depth=1
	s_load_dwordx4 s[44:47], s[2:3], 0x1c
	s_load_dwordx2 s[42:43], s[2:3], 0x2c
	s_load_dwordx2 s[48:49], s[2:3], 0xec
	s_load_dwordx4 s[52:55], s[2:3], 0xdc
	s_add_u32 s2, s2, 24
	s_waitcnt lgkmcnt(0)
	v_mul_hi_u32 v3, s45, v1
	s_addc_u32 s3, s3, 0
	s_add_i32 s24, s24, -2
	s_cmp_lg_u32 s24, 0
	v_add_u32_e32 v3, v1, v3
	v_lshrrev_b32_e32 v3, s46, v3
	v_mul_lo_u32 v5, v3, s44
	v_mul_hi_u32 v6, s42, v3
	v_sub_u32_e32 v5, v1, v5
	v_add_u32_e32 v1, v3, v6
	v_lshrrev_b32_e32 v1, s43, v1
	v_mul_lo_u32 v8, v1, s47
	v_mul_lo_u32 v6, v5, s52
	;; [unrolled: 1-line block ×4, first 2 shown]
	v_sub_u32_e32 v3, v3, v8
	v_mul_lo_u32 v8, v3, s55
	v_mul_lo_u32 v9, v3, s48
	;; [unrolled: 1-line block ×3, first 2 shown]
	v_add3_u32 v2, v6, v2, v8
	v_add3_u32 v0, v7, v0, v9
	;; [unrolled: 1-line block ×3, first 2 shown]
	s_cbranch_scc1 .LBB3_7
; %bb.8:
	s_bitcmp1_b32 s31, 0
	s_cselect_b64 s[42:43], -1, 0
	s_and_b64 vcc, exec, s[42:43]
	s_cbranch_vccnz .LBB3_10
; %bb.9:
	s_load_dwordx2 s[42:43], s[2:3], 0x1c
	s_load_dword s24, s[2:3], 0x24
	s_load_dwordx2 s[44:45], s[2:3], 0xdc
	s_waitcnt lgkmcnt(0)
	v_mul_hi_u32 v3, s43, v1
	v_add_u32_e32 v3, v1, v3
	v_lshrrev_b32_e32 v3, s24, v3
	v_mul_lo_u32 v3, v3, s42
	s_load_dword s24, s[2:3], 0xe4
	v_sub_u32_e32 v5, v1, v3
	v_mad_u64_u32 v[2:3], s[2:3], v5, s44, v[2:3]
	v_mad_u64_u32 v[0:1], s[2:3], v5, s45, v[0:1]
	s_waitcnt lgkmcnt(0)
	v_mad_u64_u32 v[4:5], s[2:3], v5, s24, v[4:5]
.LBB3_10:
	s_mov_b64 s[2:3], 0
.LBB3_11:
	s_andn2_b64 vcc, exec, s[2:3]
	s_cbranch_vccnz .LBB3_14
; %bb.12:
	v_mul_hi_u32 v0, s26, v11
	s_andn2_b64 vcc, exec, s[34:35]
	v_add_u32_e32 v0, v11, v0
	v_lshrrev_b32_e32 v1, s27, v0
	v_mul_lo_u32 v0, v1, s25
	v_sub_u32_e32 v3, v11, v0
	v_mul_lo_u32 v2, v3, s36
	v_mul_lo_u32 v0, v3, s37
	;; [unrolled: 1-line block ×3, first 2 shown]
	s_cbranch_vccnz .LBB3_14
; %bb.13:
	v_mul_hi_u32 v3, s29, v1
	v_add_u32_e32 v3, v1, v3
	v_lshrrev_b32_e32 v3, s30, v3
	v_mul_lo_u32 v3, v3, s28
	v_sub_u32_e32 v5, v1, v3
	v_mad_u64_u32 v[2:3], s[2:3], v5, s39, v[2:3]
	v_mad_u64_u32 v[0:1], s[2:3], v5, s6, v[0:1]
	;; [unrolled: 1-line block ×3, first 2 shown]
.LBB3_14:
	global_load_dwordx2 v[3:4], v4, s[12:13]
	v_mov_b32_e32 v5, 0
	v_mov_b32_e32 v6, 0
	s_waitcnt vmcnt(0)
	v_cmp_lt_i64_e32 vcc, s[14:15], v[3:4]
	s_and_saveexec_b64 s[42:43], vcc
	s_cbranch_execz .LBB3_20
; %bb.15:
	v_mov_b32_e32 v5, s15
	v_subrev_co_u32_e32 v1, vcc, s14, v3
	v_subb_co_u32_e32 v7, vcc, v4, v5, vcc
	v_or_b32_e32 v6, s17, v7
	v_mov_b32_e32 v5, 0
	v_cmp_ne_u64_e32 vcc, 0, v[5:6]
                                        ; implicit-def: $vgpr5_vgpr6
	s_and_saveexec_b64 s[2:3], vcc
	s_xor_b64 s[44:45], exec, s[2:3]
	s_cbranch_execz .LBB3_17
; %bb.16:
	s_ashr_i32 s46, s17, 31
	s_add_u32 s2, s16, s46
	s_mov_b32 s47, s46
	s_addc_u32 s3, s17, s46
	s_xor_b64 s[48:49], s[2:3], s[46:47]
	v_cvt_f32_u32_e32 v5, s48
	v_cvt_f32_u32_e32 v6, s49
	s_sub_u32 s24, 0, s48
	s_subb_u32 s47, 0, s49
	v_ashrrev_i32_e32 v9, 31, v7
	v_madmk_f32 v5, v6, 0x4f800000, v5
	v_rcp_f32_e32 v5, v5
	v_add_co_u32_e32 v1, vcc, v1, v9
	v_xor_b32_e32 v1, v1, v9
	v_mul_f32_e32 v5, 0x5f7ffffc, v5
	v_mul_f32_e32 v6, 0x2f800000, v5
	v_trunc_f32_e32 v6, v6
	v_madmk_f32 v5, v6, 0xcf800000, v5
	v_cvt_u32_f32_e32 v6, v6
	v_cvt_u32_f32_e32 v5, v5
	v_addc_co_u32_e32 v7, vcc, v7, v9, vcc
	v_readfirstlane_b32 s52, v6
	v_readfirstlane_b32 s2, v5
	s_mul_i32 s3, s24, s52
	s_mul_hi_u32 s54, s24, s2
	s_mul_i32 s53, s47, s2
	s_add_i32 s3, s54, s3
	s_add_i32 s3, s3, s53
	s_mul_i32 s55, s24, s2
	s_mul_i32 s54, s2, s3
	s_mul_hi_u32 s56, s2, s55
	s_mul_hi_u32 s53, s2, s3
	s_add_u32 s54, s56, s54
	s_addc_u32 s53, 0, s53
	s_mul_hi_u32 s57, s52, s55
	s_mul_i32 s55, s52, s55
	s_add_u32 s54, s54, s55
	s_mul_hi_u32 s56, s52, s3
	s_addc_u32 s53, s53, s57
	s_addc_u32 s54, s56, 0
	s_mul_i32 s3, s52, s3
	s_add_u32 s3, s53, s3
	s_addc_u32 s53, 0, s54
	s_add_u32 s54, s2, s3
	s_cselect_b64 s[2:3], -1, 0
	s_cmp_lg_u64 s[2:3], 0
	s_addc_u32 s52, s52, s53
	s_mul_i32 s2, s24, s52
	s_mul_hi_u32 s3, s24, s54
	s_add_i32 s2, s3, s2
	s_mul_i32 s47, s47, s54
	s_add_i32 s2, s2, s47
	s_mul_i32 s24, s24, s54
	s_mul_hi_u32 s47, s52, s24
	s_mul_i32 s53, s52, s24
	s_mul_i32 s56, s54, s2
	s_mul_hi_u32 s24, s54, s24
	s_mul_hi_u32 s55, s54, s2
	s_add_u32 s24, s24, s56
	s_addc_u32 s55, 0, s55
	s_add_u32 s24, s24, s53
	s_mul_hi_u32 s3, s52, s2
	s_addc_u32 s24, s55, s47
	s_addc_u32 s3, s3, 0
	s_mul_i32 s2, s52, s2
	s_add_u32 s2, s24, s2
	s_addc_u32 s24, 0, s3
	s_add_u32 s47, s54, s2
	s_cselect_b64 s[2:3], -1, 0
	s_cmp_lg_u64 s[2:3], 0
	s_addc_u32 s24, s52, s24
	v_mad_u64_u32 v[5:6], s[2:3], v1, s24, 0
	v_mul_hi_u32 v8, v1, s47
	v_xor_b32_e32 v10, v7, v9
	v_add_co_u32_e32 v12, vcc, v8, v5
	v_addc_co_u32_e32 v13, vcc, 0, v6, vcc
	v_mad_u64_u32 v[5:6], s[2:3], v10, s47, 0
	v_mad_u64_u32 v[7:8], s[2:3], v10, s24, 0
	v_add_co_u32_e32 v5, vcc, v12, v5
	v_addc_co_u32_e32 v5, vcc, v13, v6, vcc
	v_addc_co_u32_e32 v6, vcc, 0, v8, vcc
	v_add_co_u32_e32 v7, vcc, v5, v7
	v_addc_co_u32_e32 v8, vcc, 0, v6, vcc
	v_mul_lo_u32 v12, s49, v7
	v_mul_lo_u32 v13, s48, v8
	v_mad_u64_u32 v[5:6], s[2:3], s48, v7, 0
	v_add3_u32 v6, v6, v13, v12
	v_sub_u32_e32 v12, v10, v6
	v_mov_b32_e32 v13, s49
	v_sub_co_u32_e32 v1, vcc, v1, v5
	v_subb_co_u32_e64 v5, s[2:3], v12, v13, vcc
	v_subrev_co_u32_e64 v12, s[2:3], s48, v1
	v_subbrev_co_u32_e64 v5, s[2:3], 0, v5, s[2:3]
	v_cmp_le_u32_e64 s[2:3], s49, v5
	v_cndmask_b32_e64 v13, 0, -1, s[2:3]
	v_cmp_le_u32_e64 s[2:3], s48, v12
	v_cndmask_b32_e64 v12, 0, -1, s[2:3]
	v_cmp_eq_u32_e64 s[2:3], s49, v5
	v_cndmask_b32_e64 v5, v13, v12, s[2:3]
	v_add_co_u32_e64 v12, s[2:3], 2, v7
	v_subb_co_u32_e32 v6, vcc, v10, v6, vcc
	v_addc_co_u32_e64 v13, s[2:3], 0, v8, s[2:3]
	v_cmp_le_u32_e32 vcc, s49, v6
	v_add_co_u32_e64 v14, s[2:3], 1, v7
	v_cndmask_b32_e64 v10, 0, -1, vcc
	v_cmp_le_u32_e32 vcc, s48, v1
	v_addc_co_u32_e64 v15, s[2:3], 0, v8, s[2:3]
	v_cndmask_b32_e64 v1, 0, -1, vcc
	v_cmp_eq_u32_e32 vcc, s49, v6
	v_cmp_ne_u32_e64 s[2:3], 0, v5
	v_cndmask_b32_e32 v1, v10, v1, vcc
	v_cndmask_b32_e64 v5, v15, v13, s[2:3]
	v_cmp_ne_u32_e32 vcc, 0, v1
	v_cndmask_b32_e32 v1, v8, v5, vcc
	v_cndmask_b32_e64 v5, v14, v12, s[2:3]
	v_cndmask_b32_e32 v5, v7, v5, vcc
	v_xor_b32_e32 v6, s46, v9
	v_xor_b32_e32 v5, v5, v6
	;; [unrolled: 1-line block ×3, first 2 shown]
	v_sub_co_u32_e32 v5, vcc, v5, v6
	v_subb_co_u32_e32 v6, vcc, v1, v6, vcc
                                        ; implicit-def: $vgpr1
.LBB3_17:
	s_andn2_saveexec_b64 s[2:3], s[44:45]
	s_cbranch_execz .LBB3_19
; %bb.18:
	v_cvt_f32_u32_e32 v5, s16
	s_sub_i32 s24, 0, s16
	v_rcp_iflag_f32_e32 v5, v5
	v_mul_f32_e32 v5, 0x4f7ffffe, v5
	v_cvt_u32_f32_e32 v5, v5
	v_mul_lo_u32 v6, s24, v5
	v_mul_hi_u32 v6, v5, v6
	v_add_u32_e32 v5, v5, v6
	v_mul_hi_u32 v5, v1, v5
	v_mul_lo_u32 v6, v5, s16
	v_add_u32_e32 v7, 1, v5
	v_sub_u32_e32 v1, v1, v6
	v_subrev_u32_e32 v6, s16, v1
	v_cmp_le_u32_e32 vcc, s16, v1
	v_cndmask_b32_e32 v1, v1, v6, vcc
	v_cndmask_b32_e32 v5, v5, v7, vcc
	v_add_u32_e32 v6, 1, v5
	v_cmp_le_u32_e32 vcc, s16, v1
	v_cndmask_b32_e32 v5, v5, v6, vcc
	v_mov_b32_e32 v6, 0
.LBB3_19:
	s_or_b64 exec, exec, s[2:3]
.LBB3_20:
	s_or_b64 exec, exec, s[42:43]
	v_or_b32_e32 v8, s17, v4
	v_mov_b32_e32 v7, 0
	v_cmp_ne_u64_e32 vcc, 0, v[7:8]
                                        ; implicit-def: $vgpr7_vgpr8
	s_and_saveexec_b64 s[2:3], vcc
	s_xor_b64 s[42:43], exec, s[2:3]
	s_cbranch_execz .LBB3_22
; %bb.21:
	s_ashr_i32 s44, s17, 31
	s_add_u32 s2, s16, s44
	s_mov_b32 s45, s44
	s_addc_u32 s3, s17, s44
	s_xor_b64 s[46:47], s[2:3], s[44:45]
	v_cvt_f32_u32_e32 v1, s46
	v_cvt_f32_u32_e32 v7, s47
	s_sub_u32 s24, 0, s46
	s_subb_u32 s45, 0, s47
	v_madmk_f32 v1, v7, 0x4f800000, v1
	v_rcp_f32_e32 v1, v1
	v_mul_f32_e32 v1, 0x5f7ffffc, v1
	v_mul_f32_e32 v7, 0x2f800000, v1
	v_trunc_f32_e32 v7, v7
	v_madmk_f32 v1, v7, 0xcf800000, v1
	v_cvt_u32_f32_e32 v7, v7
	v_cvt_u32_f32_e32 v1, v1
	v_readfirstlane_b32 s48, v7
	v_readfirstlane_b32 s2, v1
	s_mul_i32 s3, s24, s48
	s_mul_hi_u32 s52, s24, s2
	s_mul_i32 s49, s45, s2
	s_add_i32 s3, s52, s3
	s_add_i32 s3, s3, s49
	s_mul_i32 s53, s24, s2
	s_mul_i32 s52, s2, s3
	s_mul_hi_u32 s54, s2, s53
	s_mul_hi_u32 s49, s2, s3
	s_add_u32 s52, s54, s52
	s_addc_u32 s49, 0, s49
	s_mul_hi_u32 s55, s48, s53
	s_mul_i32 s53, s48, s53
	s_add_u32 s52, s52, s53
	s_mul_hi_u32 s54, s48, s3
	s_addc_u32 s49, s49, s55
	s_addc_u32 s52, s54, 0
	s_mul_i32 s3, s48, s3
	s_add_u32 s3, s49, s3
	s_addc_u32 s49, 0, s52
	s_add_u32 s52, s2, s3
	s_cselect_b64 s[2:3], -1, 0
	s_cmp_lg_u64 s[2:3], 0
	s_addc_u32 s48, s48, s49
	s_mul_i32 s2, s24, s48
	s_mul_hi_u32 s3, s24, s52
	s_add_i32 s2, s3, s2
	s_mul_i32 s45, s45, s52
	s_add_i32 s2, s2, s45
	s_mul_i32 s24, s24, s52
	s_mul_hi_u32 s45, s48, s24
	s_mul_i32 s49, s48, s24
	s_mul_i32 s54, s52, s2
	s_mul_hi_u32 s24, s52, s24
	s_mul_hi_u32 s53, s52, s2
	s_add_u32 s24, s24, s54
	s_addc_u32 s53, 0, s53
	s_add_u32 s24, s24, s49
	s_mul_hi_u32 s3, s48, s2
	s_addc_u32 s24, s53, s45
	s_addc_u32 s3, s3, 0
	s_mul_i32 s2, s48, s2
	s_add_u32 s2, s24, s2
	s_addc_u32 s24, 0, s3
	s_add_u32 s45, s52, s2
	s_cselect_b64 s[2:3], -1, 0
	v_ashrrev_i32_e32 v1, 31, v4
	s_cmp_lg_u64 s[2:3], 0
	v_add_co_u32_e32 v7, vcc, v3, v1
	s_addc_u32 s24, s48, s24
	v_xor_b32_e32 v12, v7, v1
	v_mad_u64_u32 v[7:8], s[2:3], v12, s24, 0
	v_mul_hi_u32 v10, v12, s45
	v_addc_co_u32_e32 v9, vcc, v4, v1, vcc
	v_xor_b32_e32 v13, v9, v1
	v_add_co_u32_e32 v14, vcc, v10, v7
	v_addc_co_u32_e32 v15, vcc, 0, v8, vcc
	v_mad_u64_u32 v[7:8], s[2:3], v13, s45, 0
	v_mad_u64_u32 v[9:10], s[2:3], v13, s24, 0
	v_add_co_u32_e32 v7, vcc, v14, v7
	v_addc_co_u32_e32 v7, vcc, v15, v8, vcc
	v_addc_co_u32_e32 v8, vcc, 0, v10, vcc
	v_add_co_u32_e32 v9, vcc, v7, v9
	v_addc_co_u32_e32 v10, vcc, 0, v8, vcc
	v_mul_lo_u32 v14, s47, v9
	v_mul_lo_u32 v15, s46, v10
	v_mad_u64_u32 v[7:8], s[2:3], s46, v9, 0
	v_xor_b32_e32 v1, s44, v1
	v_add3_u32 v8, v8, v15, v14
	v_sub_u32_e32 v14, v13, v8
	v_mov_b32_e32 v15, s47
	v_sub_co_u32_e32 v7, vcc, v12, v7
	v_subb_co_u32_e64 v12, s[2:3], v14, v15, vcc
	v_subrev_co_u32_e64 v14, s[2:3], s46, v7
	v_subbrev_co_u32_e64 v12, s[2:3], 0, v12, s[2:3]
	v_cmp_le_u32_e64 s[2:3], s47, v12
	v_cndmask_b32_e64 v15, 0, -1, s[2:3]
	v_cmp_le_u32_e64 s[2:3], s46, v14
	v_cndmask_b32_e64 v14, 0, -1, s[2:3]
	v_cmp_eq_u32_e64 s[2:3], s47, v12
	v_cndmask_b32_e64 v12, v15, v14, s[2:3]
	v_add_co_u32_e64 v14, s[2:3], 2, v9
	v_subb_co_u32_e32 v8, vcc, v13, v8, vcc
	v_addc_co_u32_e64 v15, s[2:3], 0, v10, s[2:3]
	v_cmp_le_u32_e32 vcc, s47, v8
	v_add_co_u32_e64 v16, s[2:3], 1, v9
	v_cndmask_b32_e64 v13, 0, -1, vcc
	v_cmp_le_u32_e32 vcc, s46, v7
	v_addc_co_u32_e64 v17, s[2:3], 0, v10, s[2:3]
	v_cndmask_b32_e64 v7, 0, -1, vcc
	v_cmp_eq_u32_e32 vcc, s47, v8
	v_cmp_ne_u32_e64 s[2:3], 0, v12
	v_cndmask_b32_e32 v7, v13, v7, vcc
	v_cndmask_b32_e64 v12, v17, v15, s[2:3]
	v_cmp_ne_u32_e32 vcc, 0, v7
	v_cndmask_b32_e64 v8, v16, v14, s[2:3]
	v_cndmask_b32_e32 v7, v10, v12, vcc
	v_cndmask_b32_e32 v8, v9, v8, vcc
	v_xor_b32_e32 v9, v7, v1
	v_xor_b32_e32 v7, v8, v1
	v_sub_co_u32_e32 v7, vcc, v7, v1
	v_subb_co_u32_e32 v8, vcc, v9, v1, vcc
.LBB3_22:
	s_andn2_saveexec_b64 s[2:3], s[42:43]
	s_cbranch_execz .LBB3_24
; %bb.23:
	v_cvt_f32_u32_e32 v1, s16
	s_sub_i32 s24, 0, s16
	v_rcp_iflag_f32_e32 v1, v1
	v_mul_f32_e32 v1, 0x4f7ffffe, v1
	v_cvt_u32_f32_e32 v1, v1
	v_mul_lo_u32 v7, s24, v1
	v_mul_hi_u32 v7, v1, v7
	v_add_u32_e32 v1, v1, v7
	v_mul_hi_u32 v1, v3, v1
	v_mul_lo_u32 v7, v1, s16
	v_add_u32_e32 v8, 1, v1
	v_sub_u32_e32 v7, v3, v7
	v_subrev_u32_e32 v9, s16, v7
	v_cmp_le_u32_e32 vcc, s16, v7
	v_cndmask_b32_e32 v7, v7, v9, vcc
	v_cndmask_b32_e32 v1, v1, v8, vcc
	v_add_u32_e32 v8, 1, v1
	v_cmp_le_u32_e32 vcc, s16, v7
	v_cndmask_b32_e32 v7, v1, v8, vcc
	v_mov_b32_e32 v8, 0
.LBB3_24:
	s_or_b64 exec, exec, s[2:3]
	v_mul_lo_u32 v1, v6, s16
	v_mul_lo_u32 v12, v5, s17
	v_mad_u64_u32 v[9:10], s[2:3], v5, s16, 0
	v_add3_u32 v10, v10, v12, v1
	v_cmp_gt_i64_e32 vcc, v[9:10], v[3:4]
	v_mov_b32_e32 v1, s15
	v_add_co_u32_e64 v9, s[2:3], s14, v9
	v_addc_co_u32_e64 v10, s[2:3], v10, v1, s[2:3]
	v_cmp_ge_i64_e64 s[2:3], v[3:4], v[9:10]
	s_or_b64 s[2:3], vcc, s[2:3]
	v_cndmask_b32_e64 v1, 0, 1, s[2:3]
	v_add_co_u32_e32 v9, vcc, v5, v1
	v_addc_co_u32_e32 v10, vcc, 0, v6, vcc
	v_cmp_gt_i64_e32 vcc, s[4:5], v[7:8]
	v_mov_b32_e32 v1, s5
	v_cndmask_b32_e32 v6, v1, v8, vcc
	v_mov_b32_e32 v1, s4
	v_cndmask_b32_e32 v5, v1, v7, vcc
	v_cmp_le_i64_e32 vcc, v[9:10], v[5:6]
	s_and_saveexec_b64 s[42:43], vcc
	s_cbranch_execz .LBB3_27
; %bb.25:
	global_load_dwordx2 v[7:8], v2, s[8:9]
	v_mul_lo_u32 v15, s17, v9
	v_mul_lo_u32 v16, s16, v10
	v_mad_u64_u32 v[12:13], s[2:3], s16, v9, 0
	v_mov_b32_e32 v14, s9
	v_add_co_u32_e32 v1, vcc, s8, v2
	v_addc_co_u32_e32 v2, vcc, 0, v14, vcc
	v_add3_u32 v13, v13, v16, v15
	v_sub_co_u32_e32 v3, vcc, v3, v12
	v_subb_co_u32_e32 v4, vcc, v4, v13, vcc
	v_mul_lo_u32 v16, s23, v3
	v_mul_lo_u32 v17, s22, v4
	v_mad_u64_u32 v[12:13], s[2:3], s22, v3, 0
	v_mul_lo_u32 v18, s21, v9
	v_mul_lo_u32 v19, s20, v10
	v_mad_u64_u32 v[14:15], s[2:3], s20, v9, 0
	v_add_co_u32_e32 v3, vcc, -1, v9
	v_add3_u32 v13, v13, v17, v16
	v_add3_u32 v15, v15, v19, v18
	v_addc_co_u32_e32 v4, vcc, -1, v10, vcc
	v_lshlrev_b64 v[9:10], 3, v[12:13]
	v_lshlrev_b64 v[12:13], 3, v[14:15]
	s_mul_i32 s24, s16, s23
	v_add_co_u32_e32 v9, vcc, v9, v12
	s_mul_hi_u32 s44, s16, s22
	v_addc_co_u32_e32 v10, vcc, v10, v13, vcc
	s_add_i32 s24, s44, s24
	s_mul_i32 s44, s17, s22
	v_add_co_u32_e32 v0, vcc, v9, v0
	s_add_i32 s45, s24, s44
	s_mul_i32 s44, s16, s22
	v_addc_co_u32_e32 v10, vcc, 0, v10, vcc
	s_lshl_b64 s[2:3], s[20:21], 3
	s_lshl_b64 s[44:45], s[44:45], 3
	v_mov_b32_e32 v12, s11
	v_add_co_u32_e32 v9, vcc, s10, v0
	s_sub_u32 s24, s2, s44
	v_addc_co_u32_e32 v10, vcc, v12, v10, vcc
	s_subb_u32 s46, s3, s45
	s_mov_b64 s[44:45], 0
.LBB3_26:                               ; =>This Inner Loop Header: Depth=1
	global_load_dwordx2 v[12:13], v[9:10], off
	v_add_co_u32_e32 v3, vcc, 1, v3
	v_addc_co_u32_e32 v4, vcc, 0, v4, vcc
	v_mov_b32_e32 v0, s46
	v_add_co_u32_e32 v9, vcc, s24, v9
	v_cmp_ge_i64_e64 s[2:3], v[3:4], v[5:6]
	v_addc_co_u32_e32 v10, vcc, v10, v0, vcc
	s_or_b64 s[44:45], s[2:3], s[44:45]
	s_waitcnt vmcnt(0)
	v_add_co_u32_e32 v7, vcc, v12, v7
	v_addc_co_u32_e32 v8, vcc, v13, v8, vcc
	global_store_dwordx2 v[1:2], v[7:8], off
	s_andn2_b64 exec, exec, s[44:45]
	s_cbranch_execnz .LBB3_26
.LBB3_27:
	s_or_b64 exec, exec, s[42:43]
	v_add_u32_e32 v11, 0x100, v11
	s_or_b64 exec, exec, s[18:19]
	v_cmp_gt_i32_e32 vcc, s51, v11
	s_and_saveexec_b64 s[18:19], vcc
	s_cbranch_execz .LBB3_2
.LBB3_28:
	s_and_b64 vcc, exec, s[0:1]
	s_cbranch_vccnz .LBB3_35
; %bb.29:
	v_mov_b32_e32 v2, 0
	s_andn2_b64 vcc, exec, s[40:41]
	v_mov_b32_e32 v0, 0
	v_mov_b32_e32 v4, 0
	s_cbranch_vccnz .LBB3_34
; %bb.30:
	s_add_i32 s2, s31, 1
	s_and_b32 s24, s2, 30
	s_add_u32 s2, s33, 0xffffffe8
	s_addc_u32 s3, s50, -1
	v_mov_b32_e32 v4, 0
	v_mov_b32_e32 v0, 0
	;; [unrolled: 1-line block ×4, first 2 shown]
.LBB3_31:                               ; =>This Inner Loop Header: Depth=1
	s_load_dwordx4 s[44:47], s[2:3], 0x1c
	s_load_dwordx2 s[42:43], s[2:3], 0x2c
	s_load_dwordx2 s[48:49], s[2:3], 0xec
	s_load_dwordx4 s[52:55], s[2:3], 0xdc
	s_add_u32 s2, s2, 24
	s_waitcnt lgkmcnt(0)
	v_mul_hi_u32 v3, s45, v1
	s_addc_u32 s3, s3, 0
	s_add_i32 s24, s24, -2
	s_cmp_eq_u32 s24, 0
	v_add_u32_e32 v3, v1, v3
	v_lshrrev_b32_e32 v3, s46, v3
	v_mul_lo_u32 v5, v3, s44
	v_mul_hi_u32 v6, s42, v3
	v_sub_u32_e32 v5, v1, v5
	v_add_u32_e32 v1, v3, v6
	v_lshrrev_b32_e32 v1, s43, v1
	v_mul_lo_u32 v8, v1, s47
	v_mul_lo_u32 v6, v5, s52
	;; [unrolled: 1-line block ×4, first 2 shown]
	v_sub_u32_e32 v3, v3, v8
	v_mul_lo_u32 v8, v3, s55
	v_mul_lo_u32 v9, v3, s48
	;; [unrolled: 1-line block ×3, first 2 shown]
	v_add3_u32 v2, v6, v2, v8
	v_add3_u32 v0, v7, v0, v9
	;; [unrolled: 1-line block ×3, first 2 shown]
	s_cbranch_scc0 .LBB3_31
; %bb.32:
	s_bitcmp1_b32 s31, 0
	s_cselect_b64 s[42:43], -1, 0
	s_and_b64 vcc, exec, s[42:43]
	s_cbranch_vccnz .LBB3_34
; %bb.33:
	s_load_dwordx2 s[42:43], s[2:3], 0x1c
	s_load_dword s24, s[2:3], 0x24
	s_load_dwordx2 s[44:45], s[2:3], 0xdc
	s_waitcnt lgkmcnt(0)
	v_mul_hi_u32 v3, s43, v1
	v_add_u32_e32 v3, v1, v3
	v_lshrrev_b32_e32 v3, s24, v3
	v_mul_lo_u32 v3, v3, s42
	s_load_dword s24, s[2:3], 0xe4
	v_sub_u32_e32 v5, v1, v3
	v_mad_u64_u32 v[2:3], s[2:3], v5, s44, v[2:3]
	v_mad_u64_u32 v[0:1], s[2:3], v5, s45, v[0:1]
	s_waitcnt lgkmcnt(0)
	v_mad_u64_u32 v[4:5], s[2:3], v5, s24, v[4:5]
.LBB3_34:
	s_cbranch_execz .LBB3_36
	s_branch .LBB3_38
.LBB3_35:
                                        ; implicit-def: $vgpr2
                                        ; implicit-def: $vgpr0
                                        ; implicit-def: $vgpr4
.LBB3_36:
	v_mul_hi_u32 v0, s26, v11
	s_andn2_b64 vcc, exec, s[34:35]
	v_add_u32_e32 v0, v11, v0
	v_lshrrev_b32_e32 v1, s27, v0
	v_mul_lo_u32 v0, v1, s25
	v_sub_u32_e32 v3, v11, v0
	v_mul_lo_u32 v2, v3, s36
	v_mul_lo_u32 v0, v3, s37
	;; [unrolled: 1-line block ×3, first 2 shown]
	s_cbranch_vccnz .LBB3_38
; %bb.37:
	v_mul_hi_u32 v3, s29, v1
	v_add_u32_e32 v3, v1, v3
	v_lshrrev_b32_e32 v3, s30, v3
	v_mul_lo_u32 v3, v3, s28
	v_sub_u32_e32 v5, v1, v3
	v_mad_u64_u32 v[2:3], s[2:3], v5, s39, v[2:3]
	v_mad_u64_u32 v[0:1], s[2:3], v5, s6, v[0:1]
	;; [unrolled: 1-line block ×3, first 2 shown]
.LBB3_38:
	global_load_dwordx2 v[3:4], v4, s[12:13]
	v_mov_b32_e32 v5, 0
	v_mov_b32_e32 v6, 0
	s_waitcnt vmcnt(0)
	v_cmp_lt_i64_e32 vcc, s[14:15], v[3:4]
	s_and_saveexec_b64 s[42:43], vcc
	s_cbranch_execz .LBB3_44
; %bb.39:
	v_mov_b32_e32 v5, s15
	v_subrev_co_u32_e32 v1, vcc, s14, v3
	v_subb_co_u32_e32 v7, vcc, v4, v5, vcc
	v_or_b32_e32 v6, s17, v7
	v_mov_b32_e32 v5, 0
	v_cmp_ne_u64_e32 vcc, 0, v[5:6]
                                        ; implicit-def: $vgpr5_vgpr6
	s_and_saveexec_b64 s[2:3], vcc
	s_xor_b64 s[44:45], exec, s[2:3]
	s_cbranch_execz .LBB3_41
; %bb.40:
	s_ashr_i32 s46, s17, 31
	s_add_u32 s2, s16, s46
	s_mov_b32 s47, s46
	s_addc_u32 s3, s17, s46
	s_xor_b64 s[48:49], s[2:3], s[46:47]
	v_cvt_f32_u32_e32 v5, s48
	v_cvt_f32_u32_e32 v6, s49
	s_sub_u32 s24, 0, s48
	s_subb_u32 s47, 0, s49
	v_ashrrev_i32_e32 v9, 31, v7
	v_madmk_f32 v5, v6, 0x4f800000, v5
	v_rcp_f32_e32 v5, v5
	v_add_co_u32_e32 v1, vcc, v1, v9
	v_xor_b32_e32 v1, v1, v9
	v_mul_f32_e32 v5, 0x5f7ffffc, v5
	v_mul_f32_e32 v6, 0x2f800000, v5
	v_trunc_f32_e32 v6, v6
	v_madmk_f32 v5, v6, 0xcf800000, v5
	v_cvt_u32_f32_e32 v6, v6
	v_cvt_u32_f32_e32 v5, v5
	v_addc_co_u32_e32 v7, vcc, v7, v9, vcc
	v_readfirstlane_b32 s52, v6
	v_readfirstlane_b32 s2, v5
	s_mul_i32 s3, s24, s52
	s_mul_hi_u32 s54, s24, s2
	s_mul_i32 s53, s47, s2
	s_add_i32 s3, s54, s3
	s_add_i32 s3, s3, s53
	s_mul_i32 s55, s24, s2
	s_mul_i32 s54, s2, s3
	s_mul_hi_u32 s56, s2, s55
	s_mul_hi_u32 s53, s2, s3
	s_add_u32 s54, s56, s54
	s_addc_u32 s53, 0, s53
	s_mul_hi_u32 s57, s52, s55
	s_mul_i32 s55, s52, s55
	s_add_u32 s54, s54, s55
	s_mul_hi_u32 s56, s52, s3
	s_addc_u32 s53, s53, s57
	s_addc_u32 s54, s56, 0
	s_mul_i32 s3, s52, s3
	s_add_u32 s3, s53, s3
	s_addc_u32 s53, 0, s54
	s_add_u32 s54, s2, s3
	s_cselect_b64 s[2:3], -1, 0
	s_cmp_lg_u64 s[2:3], 0
	s_addc_u32 s52, s52, s53
	s_mul_i32 s2, s24, s52
	s_mul_hi_u32 s3, s24, s54
	s_add_i32 s2, s3, s2
	s_mul_i32 s47, s47, s54
	s_add_i32 s2, s2, s47
	s_mul_i32 s24, s24, s54
	s_mul_hi_u32 s47, s52, s24
	s_mul_i32 s53, s52, s24
	s_mul_i32 s56, s54, s2
	s_mul_hi_u32 s24, s54, s24
	s_mul_hi_u32 s55, s54, s2
	s_add_u32 s24, s24, s56
	s_addc_u32 s55, 0, s55
	s_add_u32 s24, s24, s53
	s_mul_hi_u32 s3, s52, s2
	s_addc_u32 s24, s55, s47
	s_addc_u32 s3, s3, 0
	s_mul_i32 s2, s52, s2
	s_add_u32 s2, s24, s2
	s_addc_u32 s24, 0, s3
	s_add_u32 s47, s54, s2
	s_cselect_b64 s[2:3], -1, 0
	s_cmp_lg_u64 s[2:3], 0
	s_addc_u32 s24, s52, s24
	v_mad_u64_u32 v[5:6], s[2:3], v1, s24, 0
	v_mul_hi_u32 v8, v1, s47
	v_xor_b32_e32 v10, v7, v9
	v_add_co_u32_e32 v12, vcc, v8, v5
	v_addc_co_u32_e32 v13, vcc, 0, v6, vcc
	v_mad_u64_u32 v[5:6], s[2:3], v10, s47, 0
	v_mad_u64_u32 v[7:8], s[2:3], v10, s24, 0
	v_add_co_u32_e32 v5, vcc, v12, v5
	v_addc_co_u32_e32 v5, vcc, v13, v6, vcc
	v_addc_co_u32_e32 v6, vcc, 0, v8, vcc
	v_add_co_u32_e32 v7, vcc, v5, v7
	v_addc_co_u32_e32 v8, vcc, 0, v6, vcc
	v_mul_lo_u32 v12, s49, v7
	v_mul_lo_u32 v13, s48, v8
	v_mad_u64_u32 v[5:6], s[2:3], s48, v7, 0
	v_add3_u32 v6, v6, v13, v12
	v_sub_u32_e32 v12, v10, v6
	v_mov_b32_e32 v13, s49
	v_sub_co_u32_e32 v1, vcc, v1, v5
	v_subb_co_u32_e64 v5, s[2:3], v12, v13, vcc
	v_subrev_co_u32_e64 v12, s[2:3], s48, v1
	v_subbrev_co_u32_e64 v5, s[2:3], 0, v5, s[2:3]
	v_cmp_le_u32_e64 s[2:3], s49, v5
	v_cndmask_b32_e64 v13, 0, -1, s[2:3]
	v_cmp_le_u32_e64 s[2:3], s48, v12
	v_cndmask_b32_e64 v12, 0, -1, s[2:3]
	v_cmp_eq_u32_e64 s[2:3], s49, v5
	v_cndmask_b32_e64 v5, v13, v12, s[2:3]
	v_add_co_u32_e64 v12, s[2:3], 2, v7
	v_subb_co_u32_e32 v6, vcc, v10, v6, vcc
	v_addc_co_u32_e64 v13, s[2:3], 0, v8, s[2:3]
	v_cmp_le_u32_e32 vcc, s49, v6
	v_add_co_u32_e64 v14, s[2:3], 1, v7
	v_cndmask_b32_e64 v10, 0, -1, vcc
	v_cmp_le_u32_e32 vcc, s48, v1
	v_addc_co_u32_e64 v15, s[2:3], 0, v8, s[2:3]
	v_cndmask_b32_e64 v1, 0, -1, vcc
	v_cmp_eq_u32_e32 vcc, s49, v6
	v_cmp_ne_u32_e64 s[2:3], 0, v5
	v_cndmask_b32_e32 v1, v10, v1, vcc
	v_cndmask_b32_e64 v5, v15, v13, s[2:3]
	v_cmp_ne_u32_e32 vcc, 0, v1
	v_cndmask_b32_e32 v1, v8, v5, vcc
	v_cndmask_b32_e64 v5, v14, v12, s[2:3]
	v_cndmask_b32_e32 v5, v7, v5, vcc
	v_xor_b32_e32 v6, s46, v9
	v_xor_b32_e32 v5, v5, v6
	;; [unrolled: 1-line block ×3, first 2 shown]
	v_sub_co_u32_e32 v5, vcc, v5, v6
	v_subb_co_u32_e32 v6, vcc, v1, v6, vcc
                                        ; implicit-def: $vgpr1
.LBB3_41:
	s_andn2_saveexec_b64 s[2:3], s[44:45]
	s_cbranch_execz .LBB3_43
; %bb.42:
	v_cvt_f32_u32_e32 v5, s16
	s_sub_i32 s24, 0, s16
	v_rcp_iflag_f32_e32 v5, v5
	v_mul_f32_e32 v5, 0x4f7ffffe, v5
	v_cvt_u32_f32_e32 v5, v5
	v_mul_lo_u32 v6, s24, v5
	v_mul_hi_u32 v6, v5, v6
	v_add_u32_e32 v5, v5, v6
	v_mul_hi_u32 v5, v1, v5
	v_mul_lo_u32 v6, v5, s16
	v_add_u32_e32 v7, 1, v5
	v_sub_u32_e32 v1, v1, v6
	v_subrev_u32_e32 v6, s16, v1
	v_cmp_le_u32_e32 vcc, s16, v1
	v_cndmask_b32_e32 v1, v1, v6, vcc
	v_cndmask_b32_e32 v5, v5, v7, vcc
	v_add_u32_e32 v6, 1, v5
	v_cmp_le_u32_e32 vcc, s16, v1
	v_cndmask_b32_e32 v5, v5, v6, vcc
	v_mov_b32_e32 v6, 0
.LBB3_43:
	s_or_b64 exec, exec, s[2:3]
.LBB3_44:
	s_or_b64 exec, exec, s[42:43]
	v_or_b32_e32 v8, s17, v4
	v_mov_b32_e32 v7, 0
	v_cmp_ne_u64_e32 vcc, 0, v[7:8]
                                        ; implicit-def: $vgpr7_vgpr8
	s_and_saveexec_b64 s[2:3], vcc
	s_xor_b64 s[42:43], exec, s[2:3]
	s_cbranch_execz .LBB3_46
; %bb.45:
	s_ashr_i32 s44, s17, 31
	s_add_u32 s2, s16, s44
	s_mov_b32 s45, s44
	s_addc_u32 s3, s17, s44
	s_xor_b64 s[46:47], s[2:3], s[44:45]
	v_cvt_f32_u32_e32 v1, s46
	v_cvt_f32_u32_e32 v7, s47
	s_sub_u32 s24, 0, s46
	s_subb_u32 s45, 0, s47
	v_madmk_f32 v1, v7, 0x4f800000, v1
	v_rcp_f32_e32 v1, v1
	v_mul_f32_e32 v1, 0x5f7ffffc, v1
	v_mul_f32_e32 v7, 0x2f800000, v1
	v_trunc_f32_e32 v7, v7
	v_madmk_f32 v1, v7, 0xcf800000, v1
	v_cvt_u32_f32_e32 v7, v7
	v_cvt_u32_f32_e32 v1, v1
	v_readfirstlane_b32 s48, v7
	v_readfirstlane_b32 s2, v1
	s_mul_i32 s3, s24, s48
	s_mul_hi_u32 s52, s24, s2
	s_mul_i32 s49, s45, s2
	s_add_i32 s3, s52, s3
	s_add_i32 s3, s3, s49
	s_mul_i32 s53, s24, s2
	s_mul_i32 s52, s2, s3
	s_mul_hi_u32 s54, s2, s53
	s_mul_hi_u32 s49, s2, s3
	s_add_u32 s52, s54, s52
	s_addc_u32 s49, 0, s49
	s_mul_hi_u32 s55, s48, s53
	s_mul_i32 s53, s48, s53
	s_add_u32 s52, s52, s53
	s_mul_hi_u32 s54, s48, s3
	s_addc_u32 s49, s49, s55
	s_addc_u32 s52, s54, 0
	s_mul_i32 s3, s48, s3
	s_add_u32 s3, s49, s3
	s_addc_u32 s49, 0, s52
	s_add_u32 s52, s2, s3
	s_cselect_b64 s[2:3], -1, 0
	s_cmp_lg_u64 s[2:3], 0
	s_addc_u32 s48, s48, s49
	s_mul_i32 s2, s24, s48
	s_mul_hi_u32 s3, s24, s52
	s_add_i32 s2, s3, s2
	s_mul_i32 s45, s45, s52
	s_add_i32 s2, s2, s45
	s_mul_i32 s24, s24, s52
	s_mul_hi_u32 s45, s48, s24
	s_mul_i32 s49, s48, s24
	s_mul_i32 s54, s52, s2
	s_mul_hi_u32 s24, s52, s24
	s_mul_hi_u32 s53, s52, s2
	s_add_u32 s24, s24, s54
	s_addc_u32 s53, 0, s53
	s_add_u32 s24, s24, s49
	s_mul_hi_u32 s3, s48, s2
	s_addc_u32 s24, s53, s45
	s_addc_u32 s3, s3, 0
	s_mul_i32 s2, s48, s2
	s_add_u32 s2, s24, s2
	s_addc_u32 s24, 0, s3
	s_add_u32 s45, s52, s2
	s_cselect_b64 s[2:3], -1, 0
	v_ashrrev_i32_e32 v1, 31, v4
	s_cmp_lg_u64 s[2:3], 0
	v_add_co_u32_e32 v7, vcc, v3, v1
	s_addc_u32 s24, s48, s24
	v_xor_b32_e32 v12, v7, v1
	v_mad_u64_u32 v[7:8], s[2:3], v12, s24, 0
	v_mul_hi_u32 v10, v12, s45
	v_addc_co_u32_e32 v9, vcc, v4, v1, vcc
	v_xor_b32_e32 v13, v9, v1
	v_add_co_u32_e32 v14, vcc, v10, v7
	v_addc_co_u32_e32 v15, vcc, 0, v8, vcc
	v_mad_u64_u32 v[7:8], s[2:3], v13, s45, 0
	v_mad_u64_u32 v[9:10], s[2:3], v13, s24, 0
	v_add_co_u32_e32 v7, vcc, v14, v7
	v_addc_co_u32_e32 v7, vcc, v15, v8, vcc
	v_addc_co_u32_e32 v8, vcc, 0, v10, vcc
	v_add_co_u32_e32 v9, vcc, v7, v9
	v_addc_co_u32_e32 v10, vcc, 0, v8, vcc
	v_mul_lo_u32 v14, s47, v9
	v_mul_lo_u32 v15, s46, v10
	v_mad_u64_u32 v[7:8], s[2:3], s46, v9, 0
	v_xor_b32_e32 v1, s44, v1
	v_add3_u32 v8, v8, v15, v14
	v_sub_u32_e32 v14, v13, v8
	v_mov_b32_e32 v15, s47
	v_sub_co_u32_e32 v7, vcc, v12, v7
	v_subb_co_u32_e64 v12, s[2:3], v14, v15, vcc
	v_subrev_co_u32_e64 v14, s[2:3], s46, v7
	v_subbrev_co_u32_e64 v12, s[2:3], 0, v12, s[2:3]
	v_cmp_le_u32_e64 s[2:3], s47, v12
	v_cndmask_b32_e64 v15, 0, -1, s[2:3]
	v_cmp_le_u32_e64 s[2:3], s46, v14
	v_cndmask_b32_e64 v14, 0, -1, s[2:3]
	v_cmp_eq_u32_e64 s[2:3], s47, v12
	v_cndmask_b32_e64 v12, v15, v14, s[2:3]
	v_add_co_u32_e64 v14, s[2:3], 2, v9
	v_subb_co_u32_e32 v8, vcc, v13, v8, vcc
	v_addc_co_u32_e64 v15, s[2:3], 0, v10, s[2:3]
	v_cmp_le_u32_e32 vcc, s47, v8
	v_add_co_u32_e64 v16, s[2:3], 1, v9
	v_cndmask_b32_e64 v13, 0, -1, vcc
	v_cmp_le_u32_e32 vcc, s46, v7
	v_addc_co_u32_e64 v17, s[2:3], 0, v10, s[2:3]
	v_cndmask_b32_e64 v7, 0, -1, vcc
	v_cmp_eq_u32_e32 vcc, s47, v8
	v_cmp_ne_u32_e64 s[2:3], 0, v12
	v_cndmask_b32_e32 v7, v13, v7, vcc
	v_cndmask_b32_e64 v12, v17, v15, s[2:3]
	v_cmp_ne_u32_e32 vcc, 0, v7
	v_cndmask_b32_e64 v8, v16, v14, s[2:3]
	v_cndmask_b32_e32 v7, v10, v12, vcc
	v_cndmask_b32_e32 v8, v9, v8, vcc
	v_xor_b32_e32 v9, v7, v1
	v_xor_b32_e32 v7, v8, v1
	v_sub_co_u32_e32 v7, vcc, v7, v1
	v_subb_co_u32_e32 v8, vcc, v9, v1, vcc
.LBB3_46:
	s_andn2_saveexec_b64 s[2:3], s[42:43]
	s_cbranch_execz .LBB3_48
; %bb.47:
	v_cvt_f32_u32_e32 v1, s16
	s_sub_i32 s24, 0, s16
	v_rcp_iflag_f32_e32 v1, v1
	v_mul_f32_e32 v1, 0x4f7ffffe, v1
	v_cvt_u32_f32_e32 v1, v1
	v_mul_lo_u32 v7, s24, v1
	v_mul_hi_u32 v7, v1, v7
	v_add_u32_e32 v1, v1, v7
	v_mul_hi_u32 v1, v3, v1
	v_mul_lo_u32 v7, v1, s16
	v_add_u32_e32 v8, 1, v1
	v_sub_u32_e32 v7, v3, v7
	v_subrev_u32_e32 v9, s16, v7
	v_cmp_le_u32_e32 vcc, s16, v7
	v_cndmask_b32_e32 v7, v7, v9, vcc
	v_cndmask_b32_e32 v1, v1, v8, vcc
	v_add_u32_e32 v8, 1, v1
	v_cmp_le_u32_e32 vcc, s16, v7
	v_cndmask_b32_e32 v7, v1, v8, vcc
	v_mov_b32_e32 v8, 0
.LBB3_48:
	s_or_b64 exec, exec, s[2:3]
	v_mul_lo_u32 v1, v6, s16
	v_mul_lo_u32 v12, v5, s17
	v_mad_u64_u32 v[9:10], s[2:3], v5, s16, 0
	v_add3_u32 v10, v10, v12, v1
	v_cmp_gt_i64_e32 vcc, v[9:10], v[3:4]
	v_mov_b32_e32 v1, s15
	v_add_co_u32_e64 v9, s[2:3], s14, v9
	v_addc_co_u32_e64 v10, s[2:3], v10, v1, s[2:3]
	v_cmp_ge_i64_e64 s[2:3], v[3:4], v[9:10]
	s_or_b64 s[2:3], vcc, s[2:3]
	v_cndmask_b32_e64 v1, 0, 1, s[2:3]
	v_add_co_u32_e32 v9, vcc, v5, v1
	v_addc_co_u32_e32 v10, vcc, 0, v6, vcc
	v_cmp_gt_i64_e32 vcc, s[4:5], v[7:8]
	v_mov_b32_e32 v1, s5
	v_cndmask_b32_e32 v6, v1, v8, vcc
	v_mov_b32_e32 v1, s4
	v_cndmask_b32_e32 v5, v1, v7, vcc
	v_cmp_le_i64_e32 vcc, v[9:10], v[5:6]
	s_and_saveexec_b64 s[42:43], vcc
	s_cbranch_execz .LBB3_51
; %bb.49:
	global_load_dwordx2 v[7:8], v2, s[8:9]
	v_mul_lo_u32 v15, s17, v9
	v_mul_lo_u32 v16, s16, v10
	v_mad_u64_u32 v[12:13], s[2:3], s16, v9, 0
	v_mov_b32_e32 v14, s9
	v_add_co_u32_e32 v1, vcc, s8, v2
	v_addc_co_u32_e32 v2, vcc, 0, v14, vcc
	v_add3_u32 v13, v13, v16, v15
	v_sub_co_u32_e32 v3, vcc, v3, v12
	v_subb_co_u32_e32 v4, vcc, v4, v13, vcc
	v_mul_lo_u32 v16, s23, v3
	v_mul_lo_u32 v17, s22, v4
	v_mad_u64_u32 v[12:13], s[2:3], s22, v3, 0
	v_mul_lo_u32 v18, s21, v9
	v_mul_lo_u32 v19, s20, v10
	v_mad_u64_u32 v[14:15], s[2:3], s20, v9, 0
	v_add_co_u32_e32 v3, vcc, -1, v9
	v_add3_u32 v13, v13, v17, v16
	v_add3_u32 v15, v15, v19, v18
	v_addc_co_u32_e32 v4, vcc, -1, v10, vcc
	v_lshlrev_b64 v[9:10], 3, v[12:13]
	v_lshlrev_b64 v[12:13], 3, v[14:15]
	s_mul_i32 s24, s16, s23
	v_add_co_u32_e32 v9, vcc, v9, v12
	s_mul_hi_u32 s44, s16, s22
	v_addc_co_u32_e32 v10, vcc, v10, v13, vcc
	s_add_i32 s24, s44, s24
	s_mul_i32 s44, s17, s22
	v_add_co_u32_e32 v0, vcc, v9, v0
	s_add_i32 s45, s24, s44
	s_mul_i32 s44, s16, s22
	v_addc_co_u32_e32 v10, vcc, 0, v10, vcc
	s_lshl_b64 s[2:3], s[20:21], 3
	s_lshl_b64 s[44:45], s[44:45], 3
	v_mov_b32_e32 v12, s11
	v_add_co_u32_e32 v9, vcc, s10, v0
	s_sub_u32 s24, s2, s44
	v_addc_co_u32_e32 v10, vcc, v12, v10, vcc
	s_subb_u32 s46, s3, s45
	s_mov_b64 s[44:45], 0
.LBB3_50:                               ; =>This Inner Loop Header: Depth=1
	global_load_dwordx2 v[12:13], v[9:10], off
	v_add_co_u32_e32 v3, vcc, 1, v3
	v_addc_co_u32_e32 v4, vcc, 0, v4, vcc
	v_mov_b32_e32 v0, s46
	v_add_co_u32_e32 v9, vcc, s24, v9
	v_cmp_ge_i64_e64 s[2:3], v[3:4], v[5:6]
	v_addc_co_u32_e32 v10, vcc, v10, v0, vcc
	s_or_b64 s[44:45], s[2:3], s[44:45]
	s_waitcnt vmcnt(0)
	v_add_co_u32_e32 v7, vcc, v12, v7
	v_addc_co_u32_e32 v8, vcc, v13, v8, vcc
	global_store_dwordx2 v[1:2], v[7:8], off
	s_andn2_b64 exec, exec, s[44:45]
	s_cbranch_execnz .LBB3_50
.LBB3_51:
	s_or_b64 exec, exec, s[42:43]
	v_add_u32_e32 v11, 0x100, v11
	s_or_b64 exec, exec, s[18:19]
	v_cmp_gt_i32_e32 vcc, s51, v11
	s_and_saveexec_b64 s[18:19], vcc
	s_cbranch_execz .LBB3_3
.LBB3_52:
	s_and_b64 vcc, exec, s[0:1]
	s_cbranch_vccnz .LBB3_59
; %bb.53:
	v_mov_b32_e32 v2, 0
	s_andn2_b64 vcc, exec, s[40:41]
	v_mov_b32_e32 v0, 0
	v_mov_b32_e32 v4, 0
	s_cbranch_vccnz .LBB3_58
; %bb.54:
	s_add_i32 s2, s31, 1
	s_and_b32 s24, s2, 30
	s_add_u32 s2, s33, 0xffffffe8
	s_addc_u32 s3, s50, -1
	v_mov_b32_e32 v4, 0
	v_mov_b32_e32 v0, 0
	;; [unrolled: 1-line block ×4, first 2 shown]
.LBB3_55:                               ; =>This Inner Loop Header: Depth=1
	s_load_dwordx4 s[44:47], s[2:3], 0x1c
	s_load_dwordx2 s[42:43], s[2:3], 0x2c
	s_load_dwordx2 s[48:49], s[2:3], 0xec
	s_load_dwordx4 s[52:55], s[2:3], 0xdc
	s_add_u32 s2, s2, 24
	s_waitcnt lgkmcnt(0)
	v_mul_hi_u32 v3, s45, v1
	s_addc_u32 s3, s3, 0
	s_add_i32 s24, s24, -2
	s_cmp_eq_u32 s24, 0
	v_add_u32_e32 v3, v1, v3
	v_lshrrev_b32_e32 v3, s46, v3
	v_mul_lo_u32 v5, v3, s44
	v_mul_hi_u32 v6, s42, v3
	v_sub_u32_e32 v5, v1, v5
	v_add_u32_e32 v1, v3, v6
	v_lshrrev_b32_e32 v1, s43, v1
	v_mul_lo_u32 v8, v1, s47
	v_mul_lo_u32 v6, v5, s52
	;; [unrolled: 1-line block ×4, first 2 shown]
	v_sub_u32_e32 v3, v3, v8
	v_mul_lo_u32 v8, v3, s55
	v_mul_lo_u32 v9, v3, s48
	;; [unrolled: 1-line block ×3, first 2 shown]
	v_add3_u32 v2, v6, v2, v8
	v_add3_u32 v0, v7, v0, v9
	;; [unrolled: 1-line block ×3, first 2 shown]
	s_cbranch_scc0 .LBB3_55
; %bb.56:
	s_bitcmp1_b32 s31, 0
	s_cselect_b64 s[42:43], -1, 0
	s_and_b64 vcc, exec, s[42:43]
	s_cbranch_vccnz .LBB3_58
; %bb.57:
	s_load_dwordx2 s[42:43], s[2:3], 0x1c
	s_load_dword s24, s[2:3], 0x24
	s_load_dwordx2 s[44:45], s[2:3], 0xdc
	s_waitcnt lgkmcnt(0)
	v_mul_hi_u32 v3, s43, v1
	v_add_u32_e32 v3, v1, v3
	v_lshrrev_b32_e32 v3, s24, v3
	v_mul_lo_u32 v3, v3, s42
	s_load_dword s24, s[2:3], 0xe4
	v_sub_u32_e32 v5, v1, v3
	v_mad_u64_u32 v[2:3], s[2:3], v5, s44, v[2:3]
	v_mad_u64_u32 v[0:1], s[2:3], v5, s45, v[0:1]
	s_waitcnt lgkmcnt(0)
	v_mad_u64_u32 v[4:5], s[2:3], v5, s24, v[4:5]
.LBB3_58:
	s_cbranch_execz .LBB3_60
	s_branch .LBB3_62
.LBB3_59:
                                        ; implicit-def: $vgpr2
                                        ; implicit-def: $vgpr0
                                        ; implicit-def: $vgpr4
.LBB3_60:
	v_mul_hi_u32 v0, s26, v11
	s_andn2_b64 vcc, exec, s[34:35]
	v_add_u32_e32 v0, v11, v0
	v_lshrrev_b32_e32 v1, s27, v0
	v_mul_lo_u32 v0, v1, s25
	v_sub_u32_e32 v3, v11, v0
	v_mul_lo_u32 v2, v3, s36
	v_mul_lo_u32 v0, v3, s37
	;; [unrolled: 1-line block ×3, first 2 shown]
	s_cbranch_vccnz .LBB3_62
; %bb.61:
	v_mul_hi_u32 v3, s29, v1
	v_add_u32_e32 v3, v1, v3
	v_lshrrev_b32_e32 v3, s30, v3
	v_mul_lo_u32 v3, v3, s28
	v_sub_u32_e32 v5, v1, v3
	v_mad_u64_u32 v[2:3], s[2:3], v5, s39, v[2:3]
	v_mad_u64_u32 v[0:1], s[2:3], v5, s6, v[0:1]
	;; [unrolled: 1-line block ×3, first 2 shown]
.LBB3_62:
	global_load_dwordx2 v[3:4], v4, s[12:13]
	v_mov_b32_e32 v5, 0
	v_mov_b32_e32 v6, 0
	s_waitcnt vmcnt(0)
	v_cmp_lt_i64_e32 vcc, s[14:15], v[3:4]
	s_and_saveexec_b64 s[42:43], vcc
	s_cbranch_execz .LBB3_68
; %bb.63:
	v_mov_b32_e32 v5, s15
	v_subrev_co_u32_e32 v1, vcc, s14, v3
	v_subb_co_u32_e32 v7, vcc, v4, v5, vcc
	v_or_b32_e32 v6, s17, v7
	v_mov_b32_e32 v5, 0
	v_cmp_ne_u64_e32 vcc, 0, v[5:6]
                                        ; implicit-def: $vgpr5_vgpr6
	s_and_saveexec_b64 s[2:3], vcc
	s_xor_b64 s[44:45], exec, s[2:3]
	s_cbranch_execz .LBB3_65
; %bb.64:
	s_ashr_i32 s46, s17, 31
	s_add_u32 s2, s16, s46
	s_mov_b32 s47, s46
	s_addc_u32 s3, s17, s46
	s_xor_b64 s[48:49], s[2:3], s[46:47]
	v_cvt_f32_u32_e32 v5, s48
	v_cvt_f32_u32_e32 v6, s49
	s_sub_u32 s24, 0, s48
	s_subb_u32 s47, 0, s49
	v_ashrrev_i32_e32 v9, 31, v7
	v_madmk_f32 v5, v6, 0x4f800000, v5
	v_rcp_f32_e32 v5, v5
	v_add_co_u32_e32 v1, vcc, v1, v9
	v_xor_b32_e32 v1, v1, v9
	v_mul_f32_e32 v5, 0x5f7ffffc, v5
	v_mul_f32_e32 v6, 0x2f800000, v5
	v_trunc_f32_e32 v6, v6
	v_madmk_f32 v5, v6, 0xcf800000, v5
	v_cvt_u32_f32_e32 v6, v6
	v_cvt_u32_f32_e32 v5, v5
	v_addc_co_u32_e32 v7, vcc, v7, v9, vcc
	v_readfirstlane_b32 s52, v6
	v_readfirstlane_b32 s2, v5
	s_mul_i32 s3, s24, s52
	s_mul_hi_u32 s54, s24, s2
	s_mul_i32 s53, s47, s2
	s_add_i32 s3, s54, s3
	s_add_i32 s3, s3, s53
	s_mul_i32 s55, s24, s2
	s_mul_i32 s54, s2, s3
	s_mul_hi_u32 s56, s2, s55
	s_mul_hi_u32 s53, s2, s3
	s_add_u32 s54, s56, s54
	s_addc_u32 s53, 0, s53
	s_mul_hi_u32 s57, s52, s55
	s_mul_i32 s55, s52, s55
	s_add_u32 s54, s54, s55
	s_mul_hi_u32 s56, s52, s3
	s_addc_u32 s53, s53, s57
	s_addc_u32 s54, s56, 0
	s_mul_i32 s3, s52, s3
	s_add_u32 s3, s53, s3
	s_addc_u32 s53, 0, s54
	s_add_u32 s54, s2, s3
	s_cselect_b64 s[2:3], -1, 0
	s_cmp_lg_u64 s[2:3], 0
	s_addc_u32 s52, s52, s53
	s_mul_i32 s2, s24, s52
	s_mul_hi_u32 s3, s24, s54
	s_add_i32 s2, s3, s2
	s_mul_i32 s47, s47, s54
	s_add_i32 s2, s2, s47
	s_mul_i32 s24, s24, s54
	s_mul_hi_u32 s47, s52, s24
	s_mul_i32 s53, s52, s24
	s_mul_i32 s56, s54, s2
	s_mul_hi_u32 s24, s54, s24
	s_mul_hi_u32 s55, s54, s2
	s_add_u32 s24, s24, s56
	s_addc_u32 s55, 0, s55
	s_add_u32 s24, s24, s53
	s_mul_hi_u32 s3, s52, s2
	s_addc_u32 s24, s55, s47
	s_addc_u32 s3, s3, 0
	s_mul_i32 s2, s52, s2
	s_add_u32 s2, s24, s2
	s_addc_u32 s24, 0, s3
	s_add_u32 s47, s54, s2
	s_cselect_b64 s[2:3], -1, 0
	s_cmp_lg_u64 s[2:3], 0
	s_addc_u32 s24, s52, s24
	v_mad_u64_u32 v[5:6], s[2:3], v1, s24, 0
	v_mul_hi_u32 v8, v1, s47
	v_xor_b32_e32 v10, v7, v9
	v_add_co_u32_e32 v12, vcc, v8, v5
	v_addc_co_u32_e32 v13, vcc, 0, v6, vcc
	v_mad_u64_u32 v[5:6], s[2:3], v10, s47, 0
	v_mad_u64_u32 v[7:8], s[2:3], v10, s24, 0
	v_add_co_u32_e32 v5, vcc, v12, v5
	v_addc_co_u32_e32 v5, vcc, v13, v6, vcc
	v_addc_co_u32_e32 v6, vcc, 0, v8, vcc
	v_add_co_u32_e32 v7, vcc, v5, v7
	v_addc_co_u32_e32 v8, vcc, 0, v6, vcc
	v_mul_lo_u32 v12, s49, v7
	v_mul_lo_u32 v13, s48, v8
	v_mad_u64_u32 v[5:6], s[2:3], s48, v7, 0
	v_add3_u32 v6, v6, v13, v12
	v_sub_u32_e32 v12, v10, v6
	v_mov_b32_e32 v13, s49
	v_sub_co_u32_e32 v1, vcc, v1, v5
	v_subb_co_u32_e64 v5, s[2:3], v12, v13, vcc
	v_subrev_co_u32_e64 v12, s[2:3], s48, v1
	v_subbrev_co_u32_e64 v5, s[2:3], 0, v5, s[2:3]
	v_cmp_le_u32_e64 s[2:3], s49, v5
	v_cndmask_b32_e64 v13, 0, -1, s[2:3]
	v_cmp_le_u32_e64 s[2:3], s48, v12
	v_cndmask_b32_e64 v12, 0, -1, s[2:3]
	v_cmp_eq_u32_e64 s[2:3], s49, v5
	v_cndmask_b32_e64 v5, v13, v12, s[2:3]
	v_add_co_u32_e64 v12, s[2:3], 2, v7
	v_subb_co_u32_e32 v6, vcc, v10, v6, vcc
	v_addc_co_u32_e64 v13, s[2:3], 0, v8, s[2:3]
	v_cmp_le_u32_e32 vcc, s49, v6
	v_add_co_u32_e64 v14, s[2:3], 1, v7
	v_cndmask_b32_e64 v10, 0, -1, vcc
	v_cmp_le_u32_e32 vcc, s48, v1
	v_addc_co_u32_e64 v15, s[2:3], 0, v8, s[2:3]
	v_cndmask_b32_e64 v1, 0, -1, vcc
	v_cmp_eq_u32_e32 vcc, s49, v6
	v_cmp_ne_u32_e64 s[2:3], 0, v5
	v_cndmask_b32_e32 v1, v10, v1, vcc
	v_cndmask_b32_e64 v5, v15, v13, s[2:3]
	v_cmp_ne_u32_e32 vcc, 0, v1
	v_cndmask_b32_e32 v1, v8, v5, vcc
	v_cndmask_b32_e64 v5, v14, v12, s[2:3]
	v_cndmask_b32_e32 v5, v7, v5, vcc
	v_xor_b32_e32 v6, s46, v9
	v_xor_b32_e32 v5, v5, v6
	;; [unrolled: 1-line block ×3, first 2 shown]
	v_sub_co_u32_e32 v5, vcc, v5, v6
	v_subb_co_u32_e32 v6, vcc, v1, v6, vcc
                                        ; implicit-def: $vgpr1
.LBB3_65:
	s_andn2_saveexec_b64 s[2:3], s[44:45]
	s_cbranch_execz .LBB3_67
; %bb.66:
	v_cvt_f32_u32_e32 v5, s16
	s_sub_i32 s24, 0, s16
	v_rcp_iflag_f32_e32 v5, v5
	v_mul_f32_e32 v5, 0x4f7ffffe, v5
	v_cvt_u32_f32_e32 v5, v5
	v_mul_lo_u32 v6, s24, v5
	v_mul_hi_u32 v6, v5, v6
	v_add_u32_e32 v5, v5, v6
	v_mul_hi_u32 v5, v1, v5
	v_mul_lo_u32 v6, v5, s16
	v_add_u32_e32 v7, 1, v5
	v_sub_u32_e32 v1, v1, v6
	v_subrev_u32_e32 v6, s16, v1
	v_cmp_le_u32_e32 vcc, s16, v1
	v_cndmask_b32_e32 v1, v1, v6, vcc
	v_cndmask_b32_e32 v5, v5, v7, vcc
	v_add_u32_e32 v6, 1, v5
	v_cmp_le_u32_e32 vcc, s16, v1
	v_cndmask_b32_e32 v5, v5, v6, vcc
	v_mov_b32_e32 v6, 0
.LBB3_67:
	s_or_b64 exec, exec, s[2:3]
.LBB3_68:
	s_or_b64 exec, exec, s[42:43]
	v_or_b32_e32 v8, s17, v4
	v_mov_b32_e32 v7, 0
	v_cmp_ne_u64_e32 vcc, 0, v[7:8]
                                        ; implicit-def: $vgpr7_vgpr8
	s_and_saveexec_b64 s[2:3], vcc
	s_xor_b64 s[42:43], exec, s[2:3]
	s_cbranch_execz .LBB3_70
; %bb.69:
	s_ashr_i32 s44, s17, 31
	s_add_u32 s2, s16, s44
	s_mov_b32 s45, s44
	s_addc_u32 s3, s17, s44
	s_xor_b64 s[46:47], s[2:3], s[44:45]
	v_cvt_f32_u32_e32 v1, s46
	v_cvt_f32_u32_e32 v7, s47
	s_sub_u32 s24, 0, s46
	s_subb_u32 s45, 0, s47
	v_madmk_f32 v1, v7, 0x4f800000, v1
	v_rcp_f32_e32 v1, v1
	v_mul_f32_e32 v1, 0x5f7ffffc, v1
	v_mul_f32_e32 v7, 0x2f800000, v1
	v_trunc_f32_e32 v7, v7
	v_madmk_f32 v1, v7, 0xcf800000, v1
	v_cvt_u32_f32_e32 v7, v7
	v_cvt_u32_f32_e32 v1, v1
	v_readfirstlane_b32 s48, v7
	v_readfirstlane_b32 s2, v1
	s_mul_i32 s3, s24, s48
	s_mul_hi_u32 s52, s24, s2
	s_mul_i32 s49, s45, s2
	s_add_i32 s3, s52, s3
	s_add_i32 s3, s3, s49
	s_mul_i32 s53, s24, s2
	s_mul_i32 s52, s2, s3
	s_mul_hi_u32 s54, s2, s53
	s_mul_hi_u32 s49, s2, s3
	s_add_u32 s52, s54, s52
	s_addc_u32 s49, 0, s49
	s_mul_hi_u32 s55, s48, s53
	s_mul_i32 s53, s48, s53
	s_add_u32 s52, s52, s53
	s_mul_hi_u32 s54, s48, s3
	s_addc_u32 s49, s49, s55
	s_addc_u32 s52, s54, 0
	s_mul_i32 s3, s48, s3
	s_add_u32 s3, s49, s3
	s_addc_u32 s49, 0, s52
	s_add_u32 s52, s2, s3
	s_cselect_b64 s[2:3], -1, 0
	s_cmp_lg_u64 s[2:3], 0
	s_addc_u32 s48, s48, s49
	s_mul_i32 s2, s24, s48
	s_mul_hi_u32 s3, s24, s52
	s_add_i32 s2, s3, s2
	s_mul_i32 s45, s45, s52
	s_add_i32 s2, s2, s45
	s_mul_i32 s24, s24, s52
	s_mul_hi_u32 s45, s48, s24
	s_mul_i32 s49, s48, s24
	s_mul_i32 s54, s52, s2
	s_mul_hi_u32 s24, s52, s24
	s_mul_hi_u32 s53, s52, s2
	s_add_u32 s24, s24, s54
	s_addc_u32 s53, 0, s53
	s_add_u32 s24, s24, s49
	s_mul_hi_u32 s3, s48, s2
	s_addc_u32 s24, s53, s45
	s_addc_u32 s3, s3, 0
	s_mul_i32 s2, s48, s2
	s_add_u32 s2, s24, s2
	s_addc_u32 s24, 0, s3
	s_add_u32 s45, s52, s2
	s_cselect_b64 s[2:3], -1, 0
	v_ashrrev_i32_e32 v1, 31, v4
	s_cmp_lg_u64 s[2:3], 0
	v_add_co_u32_e32 v7, vcc, v3, v1
	s_addc_u32 s24, s48, s24
	v_xor_b32_e32 v12, v7, v1
	v_mad_u64_u32 v[7:8], s[2:3], v12, s24, 0
	v_mul_hi_u32 v10, v12, s45
	v_addc_co_u32_e32 v9, vcc, v4, v1, vcc
	v_xor_b32_e32 v13, v9, v1
	v_add_co_u32_e32 v14, vcc, v10, v7
	v_addc_co_u32_e32 v15, vcc, 0, v8, vcc
	v_mad_u64_u32 v[7:8], s[2:3], v13, s45, 0
	v_mad_u64_u32 v[9:10], s[2:3], v13, s24, 0
	v_add_co_u32_e32 v7, vcc, v14, v7
	v_addc_co_u32_e32 v7, vcc, v15, v8, vcc
	v_addc_co_u32_e32 v8, vcc, 0, v10, vcc
	v_add_co_u32_e32 v9, vcc, v7, v9
	v_addc_co_u32_e32 v10, vcc, 0, v8, vcc
	v_mul_lo_u32 v14, s47, v9
	v_mul_lo_u32 v15, s46, v10
	v_mad_u64_u32 v[7:8], s[2:3], s46, v9, 0
	v_xor_b32_e32 v1, s44, v1
	v_add3_u32 v8, v8, v15, v14
	v_sub_u32_e32 v14, v13, v8
	v_mov_b32_e32 v15, s47
	v_sub_co_u32_e32 v7, vcc, v12, v7
	v_subb_co_u32_e64 v12, s[2:3], v14, v15, vcc
	v_subrev_co_u32_e64 v14, s[2:3], s46, v7
	v_subbrev_co_u32_e64 v12, s[2:3], 0, v12, s[2:3]
	v_cmp_le_u32_e64 s[2:3], s47, v12
	v_cndmask_b32_e64 v15, 0, -1, s[2:3]
	v_cmp_le_u32_e64 s[2:3], s46, v14
	v_cndmask_b32_e64 v14, 0, -1, s[2:3]
	v_cmp_eq_u32_e64 s[2:3], s47, v12
	v_cndmask_b32_e64 v12, v15, v14, s[2:3]
	v_add_co_u32_e64 v14, s[2:3], 2, v9
	v_subb_co_u32_e32 v8, vcc, v13, v8, vcc
	v_addc_co_u32_e64 v15, s[2:3], 0, v10, s[2:3]
	v_cmp_le_u32_e32 vcc, s47, v8
	v_add_co_u32_e64 v16, s[2:3], 1, v9
	v_cndmask_b32_e64 v13, 0, -1, vcc
	v_cmp_le_u32_e32 vcc, s46, v7
	v_addc_co_u32_e64 v17, s[2:3], 0, v10, s[2:3]
	v_cndmask_b32_e64 v7, 0, -1, vcc
	v_cmp_eq_u32_e32 vcc, s47, v8
	v_cmp_ne_u32_e64 s[2:3], 0, v12
	v_cndmask_b32_e32 v7, v13, v7, vcc
	v_cndmask_b32_e64 v12, v17, v15, s[2:3]
	v_cmp_ne_u32_e32 vcc, 0, v7
	v_cndmask_b32_e64 v8, v16, v14, s[2:3]
	v_cndmask_b32_e32 v7, v10, v12, vcc
	v_cndmask_b32_e32 v8, v9, v8, vcc
	v_xor_b32_e32 v9, v7, v1
	v_xor_b32_e32 v7, v8, v1
	v_sub_co_u32_e32 v7, vcc, v7, v1
	v_subb_co_u32_e32 v8, vcc, v9, v1, vcc
.LBB3_70:
	s_andn2_saveexec_b64 s[2:3], s[42:43]
	s_cbranch_execz .LBB3_72
; %bb.71:
	v_cvt_f32_u32_e32 v1, s16
	s_sub_i32 s24, 0, s16
	v_rcp_iflag_f32_e32 v1, v1
	v_mul_f32_e32 v1, 0x4f7ffffe, v1
	v_cvt_u32_f32_e32 v1, v1
	v_mul_lo_u32 v7, s24, v1
	v_mul_hi_u32 v7, v1, v7
	v_add_u32_e32 v1, v1, v7
	v_mul_hi_u32 v1, v3, v1
	v_mul_lo_u32 v7, v1, s16
	v_add_u32_e32 v8, 1, v1
	v_sub_u32_e32 v7, v3, v7
	v_subrev_u32_e32 v9, s16, v7
	v_cmp_le_u32_e32 vcc, s16, v7
	v_cndmask_b32_e32 v7, v7, v9, vcc
	v_cndmask_b32_e32 v1, v1, v8, vcc
	v_add_u32_e32 v8, 1, v1
	v_cmp_le_u32_e32 vcc, s16, v7
	v_cndmask_b32_e32 v7, v1, v8, vcc
	v_mov_b32_e32 v8, 0
.LBB3_72:
	s_or_b64 exec, exec, s[2:3]
	v_mul_lo_u32 v1, v6, s16
	v_mul_lo_u32 v12, v5, s17
	v_mad_u64_u32 v[9:10], s[2:3], v5, s16, 0
	v_add3_u32 v10, v10, v12, v1
	v_cmp_gt_i64_e32 vcc, v[9:10], v[3:4]
	v_mov_b32_e32 v1, s15
	v_add_co_u32_e64 v9, s[2:3], s14, v9
	v_addc_co_u32_e64 v10, s[2:3], v10, v1, s[2:3]
	v_cmp_ge_i64_e64 s[2:3], v[3:4], v[9:10]
	s_or_b64 s[2:3], vcc, s[2:3]
	v_cndmask_b32_e64 v1, 0, 1, s[2:3]
	v_add_co_u32_e32 v9, vcc, v5, v1
	v_addc_co_u32_e32 v10, vcc, 0, v6, vcc
	v_cmp_gt_i64_e32 vcc, s[4:5], v[7:8]
	v_mov_b32_e32 v1, s5
	v_cndmask_b32_e32 v6, v1, v8, vcc
	v_mov_b32_e32 v1, s4
	v_cndmask_b32_e32 v5, v1, v7, vcc
	v_cmp_le_i64_e32 vcc, v[9:10], v[5:6]
	s_and_saveexec_b64 s[42:43], vcc
	s_cbranch_execz .LBB3_75
; %bb.73:
	global_load_dwordx2 v[7:8], v2, s[8:9]
	v_mul_lo_u32 v15, s17, v9
	v_mul_lo_u32 v16, s16, v10
	v_mad_u64_u32 v[12:13], s[2:3], s16, v9, 0
	v_mov_b32_e32 v14, s9
	v_add_co_u32_e32 v1, vcc, s8, v2
	v_addc_co_u32_e32 v2, vcc, 0, v14, vcc
	v_add3_u32 v13, v13, v16, v15
	v_sub_co_u32_e32 v3, vcc, v3, v12
	v_subb_co_u32_e32 v4, vcc, v4, v13, vcc
	v_mul_lo_u32 v16, s23, v3
	v_mul_lo_u32 v17, s22, v4
	v_mad_u64_u32 v[12:13], s[2:3], s22, v3, 0
	v_mul_lo_u32 v18, s21, v9
	v_mul_lo_u32 v19, s20, v10
	v_mad_u64_u32 v[14:15], s[2:3], s20, v9, 0
	v_add_co_u32_e32 v3, vcc, -1, v9
	v_add3_u32 v13, v13, v17, v16
	v_add3_u32 v15, v15, v19, v18
	v_addc_co_u32_e32 v4, vcc, -1, v10, vcc
	v_lshlrev_b64 v[9:10], 3, v[12:13]
	v_lshlrev_b64 v[12:13], 3, v[14:15]
	s_mul_i32 s24, s16, s23
	v_add_co_u32_e32 v9, vcc, v9, v12
	s_mul_hi_u32 s44, s16, s22
	v_addc_co_u32_e32 v10, vcc, v10, v13, vcc
	s_add_i32 s24, s44, s24
	s_mul_i32 s44, s17, s22
	v_add_co_u32_e32 v0, vcc, v9, v0
	s_add_i32 s45, s24, s44
	s_mul_i32 s44, s16, s22
	v_addc_co_u32_e32 v10, vcc, 0, v10, vcc
	s_lshl_b64 s[2:3], s[20:21], 3
	s_lshl_b64 s[44:45], s[44:45], 3
	v_mov_b32_e32 v12, s11
	v_add_co_u32_e32 v9, vcc, s10, v0
	s_sub_u32 s24, s2, s44
	v_addc_co_u32_e32 v10, vcc, v12, v10, vcc
	s_subb_u32 s46, s3, s45
	s_mov_b64 s[44:45], 0
.LBB3_74:                               ; =>This Inner Loop Header: Depth=1
	global_load_dwordx2 v[12:13], v[9:10], off
	v_add_co_u32_e32 v3, vcc, 1, v3
	v_addc_co_u32_e32 v4, vcc, 0, v4, vcc
	v_mov_b32_e32 v0, s46
	v_add_co_u32_e32 v9, vcc, s24, v9
	v_cmp_ge_i64_e64 s[2:3], v[3:4], v[5:6]
	v_addc_co_u32_e32 v10, vcc, v10, v0, vcc
	s_or_b64 s[44:45], s[2:3], s[44:45]
	s_waitcnt vmcnt(0)
	v_add_co_u32_e32 v7, vcc, v12, v7
	v_addc_co_u32_e32 v8, vcc, v13, v8, vcc
	global_store_dwordx2 v[1:2], v[7:8], off
	s_andn2_b64 exec, exec, s[44:45]
	s_cbranch_execnz .LBB3_74
.LBB3_75:
	s_or_b64 exec, exec, s[42:43]
	v_add_u32_e32 v11, 0x100, v11
	s_or_b64 exec, exec, s[18:19]
	v_cmp_gt_i32_e32 vcc, s51, v11
	s_and_saveexec_b64 s[2:3], vcc
	s_cbranch_execz .LBB3_99
.LBB3_76:
	s_and_b64 vcc, exec, s[0:1]
	s_cbranch_vccnz .LBB3_83
; %bb.77:
	v_mov_b32_e32 v2, 0
	s_andn2_b64 vcc, exec, s[40:41]
	v_mov_b32_e32 v0, 0
	v_mov_b32_e32 v4, 0
	s_cbranch_vccnz .LBB3_82
; %bb.78:
	s_add_i32 s0, s31, 1
	s_and_b32 s2, s0, 30
	s_add_u32 s0, s33, 0xffffffe8
	s_addc_u32 s1, s50, -1
	v_mov_b32_e32 v4, 0
	v_mov_b32_e32 v0, 0
	;; [unrolled: 1-line block ×4, first 2 shown]
.LBB3_79:                               ; =>This Inner Loop Header: Depth=1
	s_load_dwordx4 s[40:43], s[0:1], 0x1c
	s_load_dwordx2 s[18:19], s[0:1], 0x2c
	s_load_dwordx2 s[48:49], s[0:1], 0xec
	s_load_dwordx4 s[44:47], s[0:1], 0xdc
	s_add_u32 s0, s0, 24
	s_waitcnt lgkmcnt(0)
	v_mul_hi_u32 v3, s41, v1
	s_addc_u32 s1, s1, 0
	s_add_i32 s2, s2, -2
	s_cmp_eq_u32 s2, 0
	v_add_u32_e32 v3, v1, v3
	v_lshrrev_b32_e32 v3, s42, v3
	v_mul_lo_u32 v5, v3, s40
	v_mul_hi_u32 v6, s18, v3
	v_sub_u32_e32 v5, v1, v5
	v_add_u32_e32 v1, v3, v6
	v_lshrrev_b32_e32 v1, s19, v1
	v_mul_lo_u32 v8, v1, s43
	v_mul_lo_u32 v6, v5, s44
	;; [unrolled: 1-line block ×4, first 2 shown]
	v_sub_u32_e32 v3, v3, v8
	v_mul_lo_u32 v8, v3, s47
	v_mul_lo_u32 v9, v3, s48
	v_mul_lo_u32 v3, v3, s49
	v_add3_u32 v2, v6, v2, v8
	v_add3_u32 v0, v7, v0, v9
	;; [unrolled: 1-line block ×3, first 2 shown]
	s_cbranch_scc0 .LBB3_79
; %bb.80:
	s_bitcmp1_b32 s31, 0
	s_cselect_b64 s[2:3], -1, 0
	s_and_b64 vcc, exec, s[2:3]
	s_cbranch_vccnz .LBB3_82
; %bb.81:
	s_load_dwordx2 s[2:3], s[0:1], 0x1c
	s_load_dword s24, s[0:1], 0x24
	s_load_dwordx2 s[18:19], s[0:1], 0xdc
	s_waitcnt lgkmcnt(0)
	v_mul_hi_u32 v3, s3, v1
	v_add_u32_e32 v3, v1, v3
	v_lshrrev_b32_e32 v3, s24, v3
	v_mul_lo_u32 v3, v3, s2
	s_load_dword s2, s[0:1], 0xe4
	v_sub_u32_e32 v5, v1, v3
	v_mad_u64_u32 v[2:3], s[0:1], v5, s18, v[2:3]
	v_mad_u64_u32 v[0:1], s[0:1], v5, s19, v[0:1]
	s_waitcnt lgkmcnt(0)
	v_mad_u64_u32 v[4:5], s[0:1], v5, s2, v[4:5]
.LBB3_82:
	s_cbranch_execz .LBB3_84
	s_branch .LBB3_86
.LBB3_83:
                                        ; implicit-def: $vgpr2
                                        ; implicit-def: $vgpr0
                                        ; implicit-def: $vgpr4
.LBB3_84:
	v_mul_hi_u32 v0, s26, v11
	s_andn2_b64 vcc, exec, s[34:35]
	v_add_u32_e32 v0, v11, v0
	v_lshrrev_b32_e32 v1, s27, v0
	v_mul_lo_u32 v0, v1, s25
	v_sub_u32_e32 v3, v11, v0
	v_mul_lo_u32 v2, v3, s36
	v_mul_lo_u32 v0, v3, s37
	v_mul_lo_u32 v4, v3, s38
	s_cbranch_vccnz .LBB3_86
; %bb.85:
	v_mul_hi_u32 v3, s29, v1
	v_add_u32_e32 v3, v1, v3
	v_lshrrev_b32_e32 v3, s30, v3
	v_mul_lo_u32 v3, v3, s28
	v_sub_u32_e32 v5, v1, v3
	v_mad_u64_u32 v[2:3], s[0:1], v5, s39, v[2:3]
	v_mad_u64_u32 v[0:1], s[0:1], v5, s6, v[0:1]
	;; [unrolled: 1-line block ×3, first 2 shown]
.LBB3_86:
	global_load_dwordx2 v[3:4], v4, s[12:13]
	v_mov_b32_e32 v5, 0
	v_mov_b32_e32 v6, 0
	s_waitcnt vmcnt(0)
	v_cmp_lt_i64_e32 vcc, s[14:15], v[3:4]
	s_and_saveexec_b64 s[2:3], vcc
	s_cbranch_execz .LBB3_92
; %bb.87:
	v_mov_b32_e32 v5, s15
	v_subrev_co_u32_e32 v1, vcc, s14, v3
	v_subb_co_u32_e32 v7, vcc, v4, v5, vcc
	v_or_b32_e32 v6, s17, v7
	v_mov_b32_e32 v5, 0
	v_cmp_ne_u64_e32 vcc, 0, v[5:6]
                                        ; implicit-def: $vgpr5_vgpr6
	s_and_saveexec_b64 s[0:1], vcc
	s_xor_b64 s[6:7], exec, s[0:1]
	s_cbranch_execz .LBB3_89
; %bb.88:
	s_ashr_i32 s12, s17, 31
	s_add_u32 s0, s16, s12
	s_mov_b32 s13, s12
	s_addc_u32 s1, s17, s12
	s_xor_b64 s[18:19], s[0:1], s[12:13]
	v_cvt_f32_u32_e32 v5, s18
	v_cvt_f32_u32_e32 v6, s19
	s_sub_u32 s13, 0, s18
	s_subb_u32 s24, 0, s19
	v_ashrrev_i32_e32 v9, 31, v7
	v_madmk_f32 v5, v6, 0x4f800000, v5
	v_rcp_f32_e32 v5, v5
	v_add_co_u32_e32 v1, vcc, v1, v9
	v_xor_b32_e32 v1, v1, v9
	v_mul_f32_e32 v5, 0x5f7ffffc, v5
	v_mul_f32_e32 v6, 0x2f800000, v5
	v_trunc_f32_e32 v6, v6
	v_madmk_f32 v5, v6, 0xcf800000, v5
	v_cvt_u32_f32_e32 v6, v6
	v_cvt_u32_f32_e32 v5, v5
	v_addc_co_u32_e32 v7, vcc, v7, v9, vcc
	v_readfirstlane_b32 s25, v6
	v_readfirstlane_b32 s0, v5
	s_mul_i32 s1, s13, s25
	s_mul_hi_u32 s27, s13, s0
	s_mul_i32 s26, s24, s0
	s_add_i32 s1, s27, s1
	s_add_i32 s1, s1, s26
	s_mul_i32 s28, s13, s0
	s_mul_i32 s27, s0, s1
	s_mul_hi_u32 s29, s0, s28
	s_mul_hi_u32 s26, s0, s1
	s_add_u32 s27, s29, s27
	s_addc_u32 s26, 0, s26
	s_mul_hi_u32 s30, s25, s28
	s_mul_i32 s28, s25, s28
	s_add_u32 s27, s27, s28
	s_mul_hi_u32 s29, s25, s1
	s_addc_u32 s26, s26, s30
	s_addc_u32 s27, s29, 0
	s_mul_i32 s1, s25, s1
	s_add_u32 s1, s26, s1
	s_addc_u32 s26, 0, s27
	s_add_u32 s27, s0, s1
	s_cselect_b64 s[0:1], -1, 0
	s_cmp_lg_u64 s[0:1], 0
	s_addc_u32 s25, s25, s26
	s_mul_i32 s0, s13, s25
	s_mul_hi_u32 s1, s13, s27
	s_add_i32 s0, s1, s0
	s_mul_i32 s24, s24, s27
	s_add_i32 s0, s0, s24
	s_mul_i32 s13, s13, s27
	s_mul_hi_u32 s24, s25, s13
	s_mul_i32 s26, s25, s13
	s_mul_i32 s29, s27, s0
	s_mul_hi_u32 s13, s27, s13
	s_mul_hi_u32 s28, s27, s0
	s_add_u32 s13, s13, s29
	s_addc_u32 s28, 0, s28
	s_add_u32 s13, s13, s26
	s_mul_hi_u32 s1, s25, s0
	s_addc_u32 s13, s28, s24
	s_addc_u32 s1, s1, 0
	s_mul_i32 s0, s25, s0
	s_add_u32 s0, s13, s0
	s_addc_u32 s13, 0, s1
	s_add_u32 s24, s27, s0
	s_cselect_b64 s[0:1], -1, 0
	s_cmp_lg_u64 s[0:1], 0
	s_addc_u32 s13, s25, s13
	v_mad_u64_u32 v[5:6], s[0:1], v1, s13, 0
	v_mul_hi_u32 v8, v1, s24
	v_xor_b32_e32 v10, v7, v9
	v_add_co_u32_e32 v11, vcc, v8, v5
	v_addc_co_u32_e32 v12, vcc, 0, v6, vcc
	v_mad_u64_u32 v[5:6], s[0:1], v10, s24, 0
	v_mad_u64_u32 v[7:8], s[0:1], v10, s13, 0
	v_add_co_u32_e32 v5, vcc, v11, v5
	v_addc_co_u32_e32 v5, vcc, v12, v6, vcc
	v_addc_co_u32_e32 v6, vcc, 0, v8, vcc
	v_add_co_u32_e32 v7, vcc, v5, v7
	v_addc_co_u32_e32 v8, vcc, 0, v6, vcc
	v_mul_lo_u32 v11, s19, v7
	v_mul_lo_u32 v12, s18, v8
	v_mad_u64_u32 v[5:6], s[0:1], s18, v7, 0
	v_add3_u32 v6, v6, v12, v11
	v_sub_u32_e32 v11, v10, v6
	v_mov_b32_e32 v12, s19
	v_sub_co_u32_e32 v1, vcc, v1, v5
	v_subb_co_u32_e64 v5, s[0:1], v11, v12, vcc
	v_subrev_co_u32_e64 v11, s[0:1], s18, v1
	v_subbrev_co_u32_e64 v5, s[0:1], 0, v5, s[0:1]
	v_cmp_le_u32_e64 s[0:1], s19, v5
	v_cndmask_b32_e64 v12, 0, -1, s[0:1]
	v_cmp_le_u32_e64 s[0:1], s18, v11
	v_cndmask_b32_e64 v11, 0, -1, s[0:1]
	v_cmp_eq_u32_e64 s[0:1], s19, v5
	v_cndmask_b32_e64 v5, v12, v11, s[0:1]
	v_add_co_u32_e64 v11, s[0:1], 2, v7
	v_subb_co_u32_e32 v6, vcc, v10, v6, vcc
	v_addc_co_u32_e64 v12, s[0:1], 0, v8, s[0:1]
	v_cmp_le_u32_e32 vcc, s19, v6
	v_add_co_u32_e64 v13, s[0:1], 1, v7
	v_cndmask_b32_e64 v10, 0, -1, vcc
	v_cmp_le_u32_e32 vcc, s18, v1
	v_addc_co_u32_e64 v14, s[0:1], 0, v8, s[0:1]
	v_cndmask_b32_e64 v1, 0, -1, vcc
	v_cmp_eq_u32_e32 vcc, s19, v6
	v_cmp_ne_u32_e64 s[0:1], 0, v5
	v_cndmask_b32_e32 v1, v10, v1, vcc
	v_cndmask_b32_e64 v5, v14, v12, s[0:1]
	v_cmp_ne_u32_e32 vcc, 0, v1
	v_cndmask_b32_e32 v1, v8, v5, vcc
	v_cndmask_b32_e64 v5, v13, v11, s[0:1]
	v_cndmask_b32_e32 v5, v7, v5, vcc
	v_xor_b32_e32 v6, s12, v9
	v_xor_b32_e32 v5, v5, v6
	;; [unrolled: 1-line block ×3, first 2 shown]
	v_sub_co_u32_e32 v5, vcc, v5, v6
	v_subb_co_u32_e32 v6, vcc, v1, v6, vcc
                                        ; implicit-def: $vgpr1
.LBB3_89:
	s_andn2_saveexec_b64 s[0:1], s[6:7]
	s_cbranch_execz .LBB3_91
; %bb.90:
	v_cvt_f32_u32_e32 v5, s16
	s_sub_i32 s6, 0, s16
	v_rcp_iflag_f32_e32 v5, v5
	v_mul_f32_e32 v5, 0x4f7ffffe, v5
	v_cvt_u32_f32_e32 v5, v5
	v_mul_lo_u32 v6, s6, v5
	v_mul_hi_u32 v6, v5, v6
	v_add_u32_e32 v5, v5, v6
	v_mul_hi_u32 v5, v1, v5
	v_mul_lo_u32 v6, v5, s16
	v_add_u32_e32 v7, 1, v5
	v_sub_u32_e32 v1, v1, v6
	v_subrev_u32_e32 v6, s16, v1
	v_cmp_le_u32_e32 vcc, s16, v1
	v_cndmask_b32_e32 v1, v1, v6, vcc
	v_cndmask_b32_e32 v5, v5, v7, vcc
	v_add_u32_e32 v6, 1, v5
	v_cmp_le_u32_e32 vcc, s16, v1
	v_cndmask_b32_e32 v5, v5, v6, vcc
	v_mov_b32_e32 v6, 0
.LBB3_91:
	s_or_b64 exec, exec, s[0:1]
.LBB3_92:
	s_or_b64 exec, exec, s[2:3]
	v_or_b32_e32 v8, s17, v4
	v_mov_b32_e32 v7, 0
	v_cmp_ne_u64_e32 vcc, 0, v[7:8]
                                        ; implicit-def: $vgpr7_vgpr8
	s_and_saveexec_b64 s[0:1], vcc
	s_xor_b64 s[2:3], exec, s[0:1]
	s_cbranch_execz .LBB3_94
; %bb.93:
	s_ashr_i32 s6, s17, 31
	s_add_u32 s0, s16, s6
	s_mov_b32 s7, s6
	s_addc_u32 s1, s17, s6
	s_xor_b64 s[12:13], s[0:1], s[6:7]
	v_cvt_f32_u32_e32 v1, s12
	v_cvt_f32_u32_e32 v7, s13
	s_sub_u32 s7, 0, s12
	s_subb_u32 s18, 0, s13
	v_madmk_f32 v1, v7, 0x4f800000, v1
	v_rcp_f32_e32 v1, v1
	v_mul_f32_e32 v1, 0x5f7ffffc, v1
	v_mul_f32_e32 v7, 0x2f800000, v1
	v_trunc_f32_e32 v7, v7
	v_madmk_f32 v1, v7, 0xcf800000, v1
	v_cvt_u32_f32_e32 v7, v7
	v_cvt_u32_f32_e32 v1, v1
	v_readfirstlane_b32 s19, v7
	v_readfirstlane_b32 s0, v1
	s_mul_i32 s1, s7, s19
	s_mul_hi_u32 s25, s7, s0
	s_mul_i32 s24, s18, s0
	s_add_i32 s1, s25, s1
	s_add_i32 s1, s1, s24
	s_mul_i32 s26, s7, s0
	s_mul_i32 s25, s0, s1
	s_mul_hi_u32 s27, s0, s26
	s_mul_hi_u32 s24, s0, s1
	s_add_u32 s25, s27, s25
	s_addc_u32 s24, 0, s24
	s_mul_hi_u32 s28, s19, s26
	s_mul_i32 s26, s19, s26
	s_add_u32 s25, s25, s26
	s_mul_hi_u32 s27, s19, s1
	s_addc_u32 s24, s24, s28
	s_addc_u32 s25, s27, 0
	s_mul_i32 s1, s19, s1
	s_add_u32 s1, s24, s1
	s_addc_u32 s24, 0, s25
	s_add_u32 s25, s0, s1
	s_cselect_b64 s[0:1], -1, 0
	s_cmp_lg_u64 s[0:1], 0
	s_addc_u32 s19, s19, s24
	s_mul_i32 s0, s7, s19
	s_mul_hi_u32 s1, s7, s25
	s_add_i32 s0, s1, s0
	s_mul_i32 s18, s18, s25
	s_add_i32 s0, s0, s18
	s_mul_i32 s7, s7, s25
	s_mul_hi_u32 s18, s19, s7
	s_mul_i32 s24, s19, s7
	s_mul_i32 s27, s25, s0
	s_mul_hi_u32 s7, s25, s7
	s_mul_hi_u32 s26, s25, s0
	s_add_u32 s7, s7, s27
	s_addc_u32 s26, 0, s26
	s_add_u32 s7, s7, s24
	s_mul_hi_u32 s1, s19, s0
	s_addc_u32 s7, s26, s18
	s_addc_u32 s1, s1, 0
	s_mul_i32 s0, s19, s0
	s_add_u32 s0, s7, s0
	s_addc_u32 s7, 0, s1
	s_add_u32 s18, s25, s0
	s_cselect_b64 s[0:1], -1, 0
	v_ashrrev_i32_e32 v1, 31, v4
	s_cmp_lg_u64 s[0:1], 0
	v_add_co_u32_e32 v7, vcc, v3, v1
	s_addc_u32 s7, s19, s7
	v_xor_b32_e32 v11, v7, v1
	v_mad_u64_u32 v[7:8], s[0:1], v11, s7, 0
	v_mul_hi_u32 v10, v11, s18
	v_addc_co_u32_e32 v9, vcc, v4, v1, vcc
	v_xor_b32_e32 v12, v9, v1
	v_add_co_u32_e32 v13, vcc, v10, v7
	v_addc_co_u32_e32 v14, vcc, 0, v8, vcc
	v_mad_u64_u32 v[7:8], s[0:1], v12, s18, 0
	v_mad_u64_u32 v[9:10], s[0:1], v12, s7, 0
	v_add_co_u32_e32 v7, vcc, v13, v7
	v_addc_co_u32_e32 v7, vcc, v14, v8, vcc
	v_addc_co_u32_e32 v8, vcc, 0, v10, vcc
	v_add_co_u32_e32 v9, vcc, v7, v9
	v_addc_co_u32_e32 v10, vcc, 0, v8, vcc
	v_mul_lo_u32 v13, s13, v9
	v_mul_lo_u32 v14, s12, v10
	v_mad_u64_u32 v[7:8], s[0:1], s12, v9, 0
	v_xor_b32_e32 v1, s6, v1
	v_add3_u32 v8, v8, v14, v13
	v_sub_u32_e32 v13, v12, v8
	v_mov_b32_e32 v14, s13
	v_sub_co_u32_e32 v7, vcc, v11, v7
	v_subb_co_u32_e64 v11, s[0:1], v13, v14, vcc
	v_subrev_co_u32_e64 v13, s[0:1], s12, v7
	v_subbrev_co_u32_e64 v11, s[0:1], 0, v11, s[0:1]
	v_cmp_le_u32_e64 s[0:1], s13, v11
	v_cndmask_b32_e64 v14, 0, -1, s[0:1]
	v_cmp_le_u32_e64 s[0:1], s12, v13
	v_cndmask_b32_e64 v13, 0, -1, s[0:1]
	v_cmp_eq_u32_e64 s[0:1], s13, v11
	v_cndmask_b32_e64 v11, v14, v13, s[0:1]
	v_add_co_u32_e64 v13, s[0:1], 2, v9
	v_subb_co_u32_e32 v8, vcc, v12, v8, vcc
	v_addc_co_u32_e64 v14, s[0:1], 0, v10, s[0:1]
	v_cmp_le_u32_e32 vcc, s13, v8
	v_add_co_u32_e64 v15, s[0:1], 1, v9
	v_cndmask_b32_e64 v12, 0, -1, vcc
	v_cmp_le_u32_e32 vcc, s12, v7
	v_addc_co_u32_e64 v16, s[0:1], 0, v10, s[0:1]
	v_cndmask_b32_e64 v7, 0, -1, vcc
	v_cmp_eq_u32_e32 vcc, s13, v8
	v_cmp_ne_u32_e64 s[0:1], 0, v11
	v_cndmask_b32_e32 v7, v12, v7, vcc
	v_cndmask_b32_e64 v11, v16, v14, s[0:1]
	v_cmp_ne_u32_e32 vcc, 0, v7
	v_cndmask_b32_e64 v8, v15, v13, s[0:1]
	v_cndmask_b32_e32 v7, v10, v11, vcc
	v_cndmask_b32_e32 v8, v9, v8, vcc
	v_xor_b32_e32 v9, v7, v1
	v_xor_b32_e32 v7, v8, v1
	v_sub_co_u32_e32 v7, vcc, v7, v1
	v_subb_co_u32_e32 v8, vcc, v9, v1, vcc
.LBB3_94:
	s_andn2_saveexec_b64 s[0:1], s[2:3]
	s_cbranch_execz .LBB3_96
; %bb.95:
	v_cvt_f32_u32_e32 v1, s16
	s_sub_i32 s2, 0, s16
	v_rcp_iflag_f32_e32 v1, v1
	v_mul_f32_e32 v1, 0x4f7ffffe, v1
	v_cvt_u32_f32_e32 v1, v1
	v_mul_lo_u32 v7, s2, v1
	v_mul_hi_u32 v7, v1, v7
	v_add_u32_e32 v1, v1, v7
	v_mul_hi_u32 v1, v3, v1
	v_mul_lo_u32 v7, v1, s16
	v_add_u32_e32 v8, 1, v1
	v_sub_u32_e32 v7, v3, v7
	v_subrev_u32_e32 v9, s16, v7
	v_cmp_le_u32_e32 vcc, s16, v7
	v_cndmask_b32_e32 v7, v7, v9, vcc
	v_cndmask_b32_e32 v1, v1, v8, vcc
	v_add_u32_e32 v8, 1, v1
	v_cmp_le_u32_e32 vcc, s16, v7
	v_cndmask_b32_e32 v7, v1, v8, vcc
	v_mov_b32_e32 v8, 0
.LBB3_96:
	s_or_b64 exec, exec, s[0:1]
	v_mul_lo_u32 v1, v6, s16
	v_mul_lo_u32 v11, v5, s17
	v_mad_u64_u32 v[9:10], s[0:1], v5, s16, 0
	v_add3_u32 v10, v10, v11, v1
	v_cmp_gt_i64_e32 vcc, v[9:10], v[3:4]
	v_mov_b32_e32 v1, s15
	v_add_co_u32_e64 v9, s[0:1], s14, v9
	v_addc_co_u32_e64 v10, s[0:1], v10, v1, s[0:1]
	v_cmp_ge_i64_e64 s[0:1], v[3:4], v[9:10]
	s_or_b64 s[0:1], vcc, s[0:1]
	v_cndmask_b32_e64 v1, 0, 1, s[0:1]
	v_add_co_u32_e32 v9, vcc, v5, v1
	v_addc_co_u32_e32 v10, vcc, 0, v6, vcc
	v_cmp_gt_i64_e32 vcc, s[4:5], v[7:8]
	v_mov_b32_e32 v1, s5
	v_cndmask_b32_e32 v6, v1, v8, vcc
	v_mov_b32_e32 v1, s4
	v_cndmask_b32_e32 v5, v1, v7, vcc
	v_cmp_le_i64_e32 vcc, v[9:10], v[5:6]
	s_and_b64 exec, exec, vcc
	s_cbranch_execz .LBB3_99
; %bb.97:
	global_load_dwordx2 v[7:8], v2, s[8:9]
	v_mul_lo_u32 v14, s17, v9
	v_mul_lo_u32 v15, s16, v10
	v_mad_u64_u32 v[11:12], s[0:1], s16, v9, 0
	v_mov_b32_e32 v13, s9
	v_add_co_u32_e32 v1, vcc, s8, v2
	v_addc_co_u32_e32 v2, vcc, 0, v13, vcc
	v_add3_u32 v12, v12, v15, v14
	v_sub_co_u32_e32 v3, vcc, v3, v11
	v_subb_co_u32_e32 v4, vcc, v4, v12, vcc
	v_mul_lo_u32 v15, s23, v3
	v_mul_lo_u32 v16, s22, v4
	v_mad_u64_u32 v[11:12], s[0:1], s22, v3, 0
	v_mul_lo_u32 v17, s21, v9
	v_mul_lo_u32 v18, s20, v10
	v_mad_u64_u32 v[13:14], s[0:1], s20, v9, 0
	v_add_co_u32_e32 v3, vcc, -1, v9
	v_add3_u32 v12, v12, v16, v15
	v_add3_u32 v14, v14, v18, v17
	v_addc_co_u32_e32 v4, vcc, -1, v10, vcc
	v_lshlrev_b64 v[9:10], 3, v[11:12]
	v_lshlrev_b64 v[11:12], 3, v[13:14]
	s_mul_i32 s2, s16, s23
	v_add_co_u32_e32 v9, vcc, v9, v11
	s_mul_hi_u32 s3, s16, s22
	v_addc_co_u32_e32 v10, vcc, v10, v12, vcc
	s_add_i32 s2, s3, s2
	s_mul_i32 s3, s17, s22
	v_add_co_u32_e32 v0, vcc, v9, v0
	s_add_i32 s3, s2, s3
	s_mul_i32 s2, s16, s22
	v_addc_co_u32_e32 v10, vcc, 0, v10, vcc
	s_lshl_b64 s[0:1], s[20:21], 3
	s_lshl_b64 s[2:3], s[2:3], 3
	v_mov_b32_e32 v11, s11
	v_add_co_u32_e32 v9, vcc, s10, v0
	s_sub_u32 s4, s0, s2
	v_addc_co_u32_e32 v10, vcc, v11, v10, vcc
	s_subb_u32 s5, s1, s3
	s_mov_b64 s[2:3], 0
.LBB3_98:                               ; =>This Inner Loop Header: Depth=1
	global_load_dwordx2 v[11:12], v[9:10], off
	v_add_co_u32_e32 v3, vcc, 1, v3
	v_addc_co_u32_e32 v4, vcc, 0, v4, vcc
	v_mov_b32_e32 v0, s5
	v_add_co_u32_e32 v9, vcc, s4, v9
	v_cmp_ge_i64_e64 s[0:1], v[3:4], v[5:6]
	v_addc_co_u32_e32 v10, vcc, v10, v0, vcc
	s_or_b64 s[2:3], s[0:1], s[2:3]
	s_waitcnt vmcnt(0)
	v_add_co_u32_e32 v7, vcc, v11, v7
	v_addc_co_u32_e32 v8, vcc, v12, v8, vcc
	global_store_dwordx2 v[1:2], v[7:8], off
	s_andn2_b64 exec, exec, s[2:3]
	s_cbranch_execnz .LBB3_98
.LBB3_99:
	s_endpgm
	.section	.rodata,"a",@progbits
	.p2align	6, 0x0
	.amdhsa_kernel _ZN2at6native12_GLOBAL__N_135_unfold_backward_elementwise_kernelILi256ELi4EZNS1_32_unfold_backward_internal_kernelIlEEvRNS_14TensorIteratorEllllllEUliE_EEviT1_
		.amdhsa_group_segment_fixed_size 0
		.amdhsa_private_segment_fixed_size 0
		.amdhsa_kernarg_size 464
		.amdhsa_user_sgpr_count 6
		.amdhsa_user_sgpr_private_segment_buffer 1
		.amdhsa_user_sgpr_dispatch_ptr 0
		.amdhsa_user_sgpr_queue_ptr 0
		.amdhsa_user_sgpr_kernarg_segment_ptr 1
		.amdhsa_user_sgpr_dispatch_id 0
		.amdhsa_user_sgpr_flat_scratch_init 0
		.amdhsa_user_sgpr_private_segment_size 0
		.amdhsa_uses_dynamic_stack 0
		.amdhsa_system_sgpr_private_segment_wavefront_offset 0
		.amdhsa_system_sgpr_workgroup_id_x 1
		.amdhsa_system_sgpr_workgroup_id_y 0
		.amdhsa_system_sgpr_workgroup_id_z 0
		.amdhsa_system_sgpr_workgroup_info 0
		.amdhsa_system_vgpr_workitem_id 0
		.amdhsa_next_free_vgpr 20
		.amdhsa_next_free_sgpr 58
		.amdhsa_reserve_vcc 1
		.amdhsa_reserve_flat_scratch 0
		.amdhsa_float_round_mode_32 0
		.amdhsa_float_round_mode_16_64 0
		.amdhsa_float_denorm_mode_32 3
		.amdhsa_float_denorm_mode_16_64 3
		.amdhsa_dx10_clamp 1
		.amdhsa_ieee_mode 1
		.amdhsa_fp16_overflow 0
		.amdhsa_exception_fp_ieee_invalid_op 0
		.amdhsa_exception_fp_denorm_src 0
		.amdhsa_exception_fp_ieee_div_zero 0
		.amdhsa_exception_fp_ieee_overflow 0
		.amdhsa_exception_fp_ieee_underflow 0
		.amdhsa_exception_fp_ieee_inexact 0
		.amdhsa_exception_int_div_zero 0
	.end_amdhsa_kernel
	.section	.text._ZN2at6native12_GLOBAL__N_135_unfold_backward_elementwise_kernelILi256ELi4EZNS1_32_unfold_backward_internal_kernelIlEEvRNS_14TensorIteratorEllllllEUliE_EEviT1_,"axG",@progbits,_ZN2at6native12_GLOBAL__N_135_unfold_backward_elementwise_kernelILi256ELi4EZNS1_32_unfold_backward_internal_kernelIlEEvRNS_14TensorIteratorEllllllEUliE_EEviT1_,comdat
.Lfunc_end3:
	.size	_ZN2at6native12_GLOBAL__N_135_unfold_backward_elementwise_kernelILi256ELi4EZNS1_32_unfold_backward_internal_kernelIlEEvRNS_14TensorIteratorEllllllEUliE_EEviT1_, .Lfunc_end3-_ZN2at6native12_GLOBAL__N_135_unfold_backward_elementwise_kernelILi256ELi4EZNS1_32_unfold_backward_internal_kernelIlEEvRNS_14TensorIteratorEllllllEUliE_EEviT1_
                                        ; -- End function
	.set _ZN2at6native12_GLOBAL__N_135_unfold_backward_elementwise_kernelILi256ELi4EZNS1_32_unfold_backward_internal_kernelIlEEvRNS_14TensorIteratorEllllllEUliE_EEviT1_.num_vgpr, 20
	.set _ZN2at6native12_GLOBAL__N_135_unfold_backward_elementwise_kernelILi256ELi4EZNS1_32_unfold_backward_internal_kernelIlEEvRNS_14TensorIteratorEllllllEUliE_EEviT1_.num_agpr, 0
	.set _ZN2at6native12_GLOBAL__N_135_unfold_backward_elementwise_kernelILi256ELi4EZNS1_32_unfold_backward_internal_kernelIlEEvRNS_14TensorIteratorEllllllEUliE_EEviT1_.numbered_sgpr, 58
	.set _ZN2at6native12_GLOBAL__N_135_unfold_backward_elementwise_kernelILi256ELi4EZNS1_32_unfold_backward_internal_kernelIlEEvRNS_14TensorIteratorEllllllEUliE_EEviT1_.num_named_barrier, 0
	.set _ZN2at6native12_GLOBAL__N_135_unfold_backward_elementwise_kernelILi256ELi4EZNS1_32_unfold_backward_internal_kernelIlEEvRNS_14TensorIteratorEllllllEUliE_EEviT1_.private_seg_size, 0
	.set _ZN2at6native12_GLOBAL__N_135_unfold_backward_elementwise_kernelILi256ELi4EZNS1_32_unfold_backward_internal_kernelIlEEvRNS_14TensorIteratorEllllllEUliE_EEviT1_.uses_vcc, 1
	.set _ZN2at6native12_GLOBAL__N_135_unfold_backward_elementwise_kernelILi256ELi4EZNS1_32_unfold_backward_internal_kernelIlEEvRNS_14TensorIteratorEllllllEUliE_EEviT1_.uses_flat_scratch, 0
	.set _ZN2at6native12_GLOBAL__N_135_unfold_backward_elementwise_kernelILi256ELi4EZNS1_32_unfold_backward_internal_kernelIlEEvRNS_14TensorIteratorEllllllEUliE_EEviT1_.has_dyn_sized_stack, 0
	.set _ZN2at6native12_GLOBAL__N_135_unfold_backward_elementwise_kernelILi256ELi4EZNS1_32_unfold_backward_internal_kernelIlEEvRNS_14TensorIteratorEllllllEUliE_EEviT1_.has_recursion, 0
	.set _ZN2at6native12_GLOBAL__N_135_unfold_backward_elementwise_kernelILi256ELi4EZNS1_32_unfold_backward_internal_kernelIlEEvRNS_14TensorIteratorEllllllEUliE_EEviT1_.has_indirect_call, 0
	.section	.AMDGPU.csdata,"",@progbits
; Kernel info:
; codeLenInByte = 9976
; TotalNumSgprs: 62
; NumVgprs: 20
; ScratchSize: 0
; MemoryBound: 0
; FloatMode: 240
; IeeeMode: 1
; LDSByteSize: 0 bytes/workgroup (compile time only)
; SGPRBlocks: 7
; VGPRBlocks: 4
; NumSGPRsForWavesPerEU: 62
; NumVGPRsForWavesPerEU: 20
; Occupancy: 10
; WaveLimiterHint : 1
; COMPUTE_PGM_RSRC2:SCRATCH_EN: 0
; COMPUTE_PGM_RSRC2:USER_SGPR: 6
; COMPUTE_PGM_RSRC2:TRAP_HANDLER: 0
; COMPUTE_PGM_RSRC2:TGID_X_EN: 1
; COMPUTE_PGM_RSRC2:TGID_Y_EN: 0
; COMPUTE_PGM_RSRC2:TGID_Z_EN: 0
; COMPUTE_PGM_RSRC2:TIDIG_COMP_CNT: 0
	.section	.text._ZN2at6native12_GLOBAL__N_135_unfold_backward_elementwise_kernelILi256ELi4EZNS1_32_unfold_backward_internal_kernelIsEEvRNS_14TensorIteratorEllllllEUliE_EEviT1_,"axG",@progbits,_ZN2at6native12_GLOBAL__N_135_unfold_backward_elementwise_kernelILi256ELi4EZNS1_32_unfold_backward_internal_kernelIsEEvRNS_14TensorIteratorEllllllEUliE_EEviT1_,comdat
	.globl	_ZN2at6native12_GLOBAL__N_135_unfold_backward_elementwise_kernelILi256ELi4EZNS1_32_unfold_backward_internal_kernelIsEEvRNS_14TensorIteratorEllllllEUliE_EEviT1_ ; -- Begin function _ZN2at6native12_GLOBAL__N_135_unfold_backward_elementwise_kernelILi256ELi4EZNS1_32_unfold_backward_internal_kernelIsEEvRNS_14TensorIteratorEllllllEUliE_EEviT1_
	.p2align	8
	.type	_ZN2at6native12_GLOBAL__N_135_unfold_backward_elementwise_kernelILi256ELi4EZNS1_32_unfold_backward_internal_kernelIsEEvRNS_14TensorIteratorEllllllEUliE_EEviT1_,@function
_ZN2at6native12_GLOBAL__N_135_unfold_backward_elementwise_kernelILi256ELi4EZNS1_32_unfold_backward_internal_kernelIsEEvRNS_14TensorIteratorEllllllEUliE_EEviT1_: ; @_ZN2at6native12_GLOBAL__N_135_unfold_backward_elementwise_kernelILi256ELi4EZNS1_32_unfold_backward_internal_kernelIsEEvRNS_14TensorIteratorEllllllEUliE_EEviT1_
; %bb.0:
	s_load_dword s51, s[4:5], 0x0
	s_load_dwordx8 s[24:31], s[4:5], 0x8
	s_add_u32 s33, s4, 8
	v_lshl_or_b32 v11, s6, 10, v0
	s_addc_u32 s50, s5, 0
	s_load_dwordx16 s[8:23], s[4:5], 0x190
	s_load_dwordx4 s[36:39], s[4:5], 0xcc
	s_load_dwordx2 s[6:7], s[4:5], 0xdc
	s_waitcnt lgkmcnt(0)
	v_sub_co_u32_e64 v0, s[0:1], s24, 1
	s_xor_b64 s[40:41], s[0:1], -1
	v_readfirstlane_b32 s0, v0
	s_min_u32 s31, s0, 15
	s_cmp_gt_u32 s24, 1
	v_cmp_lt_u32_e64 s[0:1], 1, v0
	s_cselect_b64 s[34:35], -1, 0
	s_add_u32 s4, s18, -1
	v_cndmask_b32_e64 v0, 0, 1, s[0:1]
	s_mov_b64 s[2:3], -1
	s_addc_u32 s5, s19, -1
	v_cmp_gt_i32_e32 vcc, s51, v11
	v_cmp_ne_u32_e64 s[0:1], 1, v0
	s_and_saveexec_b64 s[18:19], vcc
	s_cbranch_execnz .LBB4_4
; %bb.1:
	s_or_b64 exec, exec, s[18:19]
	v_cmp_gt_i32_e32 vcc, s51, v11
	s_and_saveexec_b64 s[18:19], vcc
	s_cbranch_execnz .LBB4_28
.LBB4_2:
	s_or_b64 exec, exec, s[18:19]
	v_cmp_gt_i32_e32 vcc, s51, v11
	s_and_saveexec_b64 s[18:19], vcc
	s_cbranch_execnz .LBB4_52
.LBB4_3:
	s_or_b64 exec, exec, s[18:19]
	v_cmp_gt_i32_e32 vcc, s51, v11
	s_and_saveexec_b64 s[2:3], vcc
	s_cbranch_execnz .LBB4_76
	s_branch .LBB4_99
.LBB4_4:
	s_and_b64 vcc, exec, s[0:1]
                                        ; implicit-def: $vgpr2
                                        ; implicit-def: $vgpr0
                                        ; implicit-def: $vgpr4
	s_cbranch_vccnz .LBB4_11
; %bb.5:
	v_mov_b32_e32 v2, 0
	s_andn2_b64 vcc, exec, s[40:41]
	v_mov_b32_e32 v0, 0
	v_mov_b32_e32 v4, 0
	s_cbranch_vccnz .LBB4_10
; %bb.6:
	s_add_i32 s2, s31, 1
	s_and_b32 s24, s2, 30
	s_add_u32 s2, s33, 0xffffffe8
	s_addc_u32 s3, s50, -1
	v_mov_b32_e32 v4, 0
	v_mov_b32_e32 v0, 0
	;; [unrolled: 1-line block ×4, first 2 shown]
.LBB4_7:                                ; =>This Inner Loop Header: Depth=1
	s_load_dwordx4 s[44:47], s[2:3], 0x1c
	s_load_dwordx2 s[42:43], s[2:3], 0x2c
	s_load_dwordx2 s[48:49], s[2:3], 0xec
	s_load_dwordx4 s[52:55], s[2:3], 0xdc
	s_add_u32 s2, s2, 24
	s_waitcnt lgkmcnt(0)
	v_mul_hi_u32 v3, s45, v1
	s_addc_u32 s3, s3, 0
	s_add_i32 s24, s24, -2
	s_cmp_lg_u32 s24, 0
	v_add_u32_e32 v3, v1, v3
	v_lshrrev_b32_e32 v3, s46, v3
	v_mul_lo_u32 v5, v3, s44
	v_mul_hi_u32 v6, s42, v3
	v_sub_u32_e32 v5, v1, v5
	v_add_u32_e32 v1, v3, v6
	v_lshrrev_b32_e32 v1, s43, v1
	v_mul_lo_u32 v8, v1, s47
	v_mul_lo_u32 v6, v5, s52
	;; [unrolled: 1-line block ×4, first 2 shown]
	v_sub_u32_e32 v3, v3, v8
	v_mul_lo_u32 v8, v3, s55
	v_mul_lo_u32 v9, v3, s48
	;; [unrolled: 1-line block ×3, first 2 shown]
	v_add3_u32 v2, v6, v2, v8
	v_add3_u32 v0, v7, v0, v9
	v_add3_u32 v4, v5, v4, v3
	s_cbranch_scc1 .LBB4_7
; %bb.8:
	s_bitcmp1_b32 s31, 0
	s_cselect_b64 s[42:43], -1, 0
	s_and_b64 vcc, exec, s[42:43]
	s_cbranch_vccnz .LBB4_10
; %bb.9:
	s_load_dwordx2 s[42:43], s[2:3], 0x1c
	s_load_dword s24, s[2:3], 0x24
	s_load_dwordx2 s[44:45], s[2:3], 0xdc
	s_waitcnt lgkmcnt(0)
	v_mul_hi_u32 v3, s43, v1
	v_add_u32_e32 v3, v1, v3
	v_lshrrev_b32_e32 v3, s24, v3
	v_mul_lo_u32 v3, v3, s42
	s_load_dword s24, s[2:3], 0xe4
	v_sub_u32_e32 v5, v1, v3
	v_mad_u64_u32 v[2:3], s[2:3], v5, s44, v[2:3]
	v_mad_u64_u32 v[0:1], s[2:3], v5, s45, v[0:1]
	s_waitcnt lgkmcnt(0)
	v_mad_u64_u32 v[4:5], s[2:3], v5, s24, v[4:5]
.LBB4_10:
	s_mov_b64 s[2:3], 0
.LBB4_11:
	s_andn2_b64 vcc, exec, s[2:3]
	s_cbranch_vccnz .LBB4_14
; %bb.12:
	v_mul_hi_u32 v0, s26, v11
	s_andn2_b64 vcc, exec, s[34:35]
	v_add_u32_e32 v0, v11, v0
	v_lshrrev_b32_e32 v1, s27, v0
	v_mul_lo_u32 v0, v1, s25
	v_sub_u32_e32 v3, v11, v0
	v_mul_lo_u32 v2, v3, s36
	v_mul_lo_u32 v0, v3, s37
	;; [unrolled: 1-line block ×3, first 2 shown]
	s_cbranch_vccnz .LBB4_14
; %bb.13:
	v_mul_hi_u32 v3, s29, v1
	v_add_u32_e32 v3, v1, v3
	v_lshrrev_b32_e32 v3, s30, v3
	v_mul_lo_u32 v3, v3, s28
	v_sub_u32_e32 v5, v1, v3
	v_mad_u64_u32 v[2:3], s[2:3], v5, s39, v[2:3]
	v_mad_u64_u32 v[0:1], s[2:3], v5, s6, v[0:1]
	;; [unrolled: 1-line block ×3, first 2 shown]
.LBB4_14:
	global_load_dwordx2 v[3:4], v4, s[12:13]
	v_mov_b32_e32 v5, 0
	v_mov_b32_e32 v6, 0
	s_waitcnt vmcnt(0)
	v_cmp_lt_i64_e32 vcc, s[14:15], v[3:4]
	s_and_saveexec_b64 s[42:43], vcc
	s_cbranch_execz .LBB4_20
; %bb.15:
	v_mov_b32_e32 v5, s15
	v_subrev_co_u32_e32 v1, vcc, s14, v3
	v_subb_co_u32_e32 v7, vcc, v4, v5, vcc
	v_or_b32_e32 v6, s17, v7
	v_mov_b32_e32 v5, 0
	v_cmp_ne_u64_e32 vcc, 0, v[5:6]
                                        ; implicit-def: $vgpr5_vgpr6
	s_and_saveexec_b64 s[2:3], vcc
	s_xor_b64 s[44:45], exec, s[2:3]
	s_cbranch_execz .LBB4_17
; %bb.16:
	s_ashr_i32 s46, s17, 31
	s_add_u32 s2, s16, s46
	s_mov_b32 s47, s46
	s_addc_u32 s3, s17, s46
	s_xor_b64 s[48:49], s[2:3], s[46:47]
	v_cvt_f32_u32_e32 v5, s48
	v_cvt_f32_u32_e32 v6, s49
	s_sub_u32 s24, 0, s48
	s_subb_u32 s47, 0, s49
	v_ashrrev_i32_e32 v9, 31, v7
	v_madmk_f32 v5, v6, 0x4f800000, v5
	v_rcp_f32_e32 v5, v5
	v_add_co_u32_e32 v1, vcc, v1, v9
	v_xor_b32_e32 v1, v1, v9
	v_mul_f32_e32 v5, 0x5f7ffffc, v5
	v_mul_f32_e32 v6, 0x2f800000, v5
	v_trunc_f32_e32 v6, v6
	v_madmk_f32 v5, v6, 0xcf800000, v5
	v_cvt_u32_f32_e32 v6, v6
	v_cvt_u32_f32_e32 v5, v5
	v_addc_co_u32_e32 v7, vcc, v7, v9, vcc
	v_readfirstlane_b32 s52, v6
	v_readfirstlane_b32 s2, v5
	s_mul_i32 s3, s24, s52
	s_mul_hi_u32 s54, s24, s2
	s_mul_i32 s53, s47, s2
	s_add_i32 s3, s54, s3
	s_add_i32 s3, s3, s53
	s_mul_i32 s55, s24, s2
	s_mul_i32 s54, s2, s3
	s_mul_hi_u32 s56, s2, s55
	s_mul_hi_u32 s53, s2, s3
	s_add_u32 s54, s56, s54
	s_addc_u32 s53, 0, s53
	s_mul_hi_u32 s57, s52, s55
	s_mul_i32 s55, s52, s55
	s_add_u32 s54, s54, s55
	s_mul_hi_u32 s56, s52, s3
	s_addc_u32 s53, s53, s57
	s_addc_u32 s54, s56, 0
	s_mul_i32 s3, s52, s3
	s_add_u32 s3, s53, s3
	s_addc_u32 s53, 0, s54
	s_add_u32 s54, s2, s3
	s_cselect_b64 s[2:3], -1, 0
	s_cmp_lg_u64 s[2:3], 0
	s_addc_u32 s52, s52, s53
	s_mul_i32 s2, s24, s52
	s_mul_hi_u32 s3, s24, s54
	s_add_i32 s2, s3, s2
	s_mul_i32 s47, s47, s54
	s_add_i32 s2, s2, s47
	s_mul_i32 s24, s24, s54
	s_mul_hi_u32 s47, s52, s24
	s_mul_i32 s53, s52, s24
	s_mul_i32 s56, s54, s2
	s_mul_hi_u32 s24, s54, s24
	s_mul_hi_u32 s55, s54, s2
	s_add_u32 s24, s24, s56
	s_addc_u32 s55, 0, s55
	s_add_u32 s24, s24, s53
	s_mul_hi_u32 s3, s52, s2
	s_addc_u32 s24, s55, s47
	s_addc_u32 s3, s3, 0
	s_mul_i32 s2, s52, s2
	s_add_u32 s2, s24, s2
	s_addc_u32 s24, 0, s3
	s_add_u32 s47, s54, s2
	s_cselect_b64 s[2:3], -1, 0
	s_cmp_lg_u64 s[2:3], 0
	s_addc_u32 s24, s52, s24
	v_mad_u64_u32 v[5:6], s[2:3], v1, s24, 0
	v_mul_hi_u32 v8, v1, s47
	v_xor_b32_e32 v10, v7, v9
	v_add_co_u32_e32 v12, vcc, v8, v5
	v_addc_co_u32_e32 v13, vcc, 0, v6, vcc
	v_mad_u64_u32 v[5:6], s[2:3], v10, s47, 0
	v_mad_u64_u32 v[7:8], s[2:3], v10, s24, 0
	v_add_co_u32_e32 v5, vcc, v12, v5
	v_addc_co_u32_e32 v5, vcc, v13, v6, vcc
	v_addc_co_u32_e32 v6, vcc, 0, v8, vcc
	v_add_co_u32_e32 v7, vcc, v5, v7
	v_addc_co_u32_e32 v8, vcc, 0, v6, vcc
	v_mul_lo_u32 v12, s49, v7
	v_mul_lo_u32 v13, s48, v8
	v_mad_u64_u32 v[5:6], s[2:3], s48, v7, 0
	v_add3_u32 v6, v6, v13, v12
	v_sub_u32_e32 v12, v10, v6
	v_mov_b32_e32 v13, s49
	v_sub_co_u32_e32 v1, vcc, v1, v5
	v_subb_co_u32_e64 v5, s[2:3], v12, v13, vcc
	v_subrev_co_u32_e64 v12, s[2:3], s48, v1
	v_subbrev_co_u32_e64 v5, s[2:3], 0, v5, s[2:3]
	v_cmp_le_u32_e64 s[2:3], s49, v5
	v_cndmask_b32_e64 v13, 0, -1, s[2:3]
	v_cmp_le_u32_e64 s[2:3], s48, v12
	v_cndmask_b32_e64 v12, 0, -1, s[2:3]
	v_cmp_eq_u32_e64 s[2:3], s49, v5
	v_cndmask_b32_e64 v5, v13, v12, s[2:3]
	v_add_co_u32_e64 v12, s[2:3], 2, v7
	v_subb_co_u32_e32 v6, vcc, v10, v6, vcc
	v_addc_co_u32_e64 v13, s[2:3], 0, v8, s[2:3]
	v_cmp_le_u32_e32 vcc, s49, v6
	v_add_co_u32_e64 v14, s[2:3], 1, v7
	v_cndmask_b32_e64 v10, 0, -1, vcc
	v_cmp_le_u32_e32 vcc, s48, v1
	v_addc_co_u32_e64 v15, s[2:3], 0, v8, s[2:3]
	v_cndmask_b32_e64 v1, 0, -1, vcc
	v_cmp_eq_u32_e32 vcc, s49, v6
	v_cmp_ne_u32_e64 s[2:3], 0, v5
	v_cndmask_b32_e32 v1, v10, v1, vcc
	v_cndmask_b32_e64 v5, v15, v13, s[2:3]
	v_cmp_ne_u32_e32 vcc, 0, v1
	v_cndmask_b32_e32 v1, v8, v5, vcc
	v_cndmask_b32_e64 v5, v14, v12, s[2:3]
	v_cndmask_b32_e32 v5, v7, v5, vcc
	v_xor_b32_e32 v6, s46, v9
	v_xor_b32_e32 v5, v5, v6
	;; [unrolled: 1-line block ×3, first 2 shown]
	v_sub_co_u32_e32 v5, vcc, v5, v6
	v_subb_co_u32_e32 v6, vcc, v1, v6, vcc
                                        ; implicit-def: $vgpr1
.LBB4_17:
	s_andn2_saveexec_b64 s[2:3], s[44:45]
	s_cbranch_execz .LBB4_19
; %bb.18:
	v_cvt_f32_u32_e32 v5, s16
	s_sub_i32 s24, 0, s16
	v_rcp_iflag_f32_e32 v5, v5
	v_mul_f32_e32 v5, 0x4f7ffffe, v5
	v_cvt_u32_f32_e32 v5, v5
	v_mul_lo_u32 v6, s24, v5
	v_mul_hi_u32 v6, v5, v6
	v_add_u32_e32 v5, v5, v6
	v_mul_hi_u32 v5, v1, v5
	v_mul_lo_u32 v6, v5, s16
	v_add_u32_e32 v7, 1, v5
	v_sub_u32_e32 v1, v1, v6
	v_subrev_u32_e32 v6, s16, v1
	v_cmp_le_u32_e32 vcc, s16, v1
	v_cndmask_b32_e32 v1, v1, v6, vcc
	v_cndmask_b32_e32 v5, v5, v7, vcc
	v_add_u32_e32 v6, 1, v5
	v_cmp_le_u32_e32 vcc, s16, v1
	v_cndmask_b32_e32 v5, v5, v6, vcc
	v_mov_b32_e32 v6, 0
.LBB4_19:
	s_or_b64 exec, exec, s[2:3]
.LBB4_20:
	s_or_b64 exec, exec, s[42:43]
	v_or_b32_e32 v8, s17, v4
	v_mov_b32_e32 v7, 0
	v_cmp_ne_u64_e32 vcc, 0, v[7:8]
                                        ; implicit-def: $vgpr7_vgpr8
	s_and_saveexec_b64 s[2:3], vcc
	s_xor_b64 s[42:43], exec, s[2:3]
	s_cbranch_execz .LBB4_22
; %bb.21:
	s_ashr_i32 s44, s17, 31
	s_add_u32 s2, s16, s44
	s_mov_b32 s45, s44
	s_addc_u32 s3, s17, s44
	s_xor_b64 s[46:47], s[2:3], s[44:45]
	v_cvt_f32_u32_e32 v1, s46
	v_cvt_f32_u32_e32 v7, s47
	s_sub_u32 s24, 0, s46
	s_subb_u32 s45, 0, s47
	v_madmk_f32 v1, v7, 0x4f800000, v1
	v_rcp_f32_e32 v1, v1
	v_mul_f32_e32 v1, 0x5f7ffffc, v1
	v_mul_f32_e32 v7, 0x2f800000, v1
	v_trunc_f32_e32 v7, v7
	v_madmk_f32 v1, v7, 0xcf800000, v1
	v_cvt_u32_f32_e32 v7, v7
	v_cvt_u32_f32_e32 v1, v1
	v_readfirstlane_b32 s48, v7
	v_readfirstlane_b32 s2, v1
	s_mul_i32 s3, s24, s48
	s_mul_hi_u32 s52, s24, s2
	s_mul_i32 s49, s45, s2
	s_add_i32 s3, s52, s3
	s_add_i32 s3, s3, s49
	s_mul_i32 s53, s24, s2
	s_mul_i32 s52, s2, s3
	s_mul_hi_u32 s54, s2, s53
	s_mul_hi_u32 s49, s2, s3
	s_add_u32 s52, s54, s52
	s_addc_u32 s49, 0, s49
	s_mul_hi_u32 s55, s48, s53
	s_mul_i32 s53, s48, s53
	s_add_u32 s52, s52, s53
	s_mul_hi_u32 s54, s48, s3
	s_addc_u32 s49, s49, s55
	s_addc_u32 s52, s54, 0
	s_mul_i32 s3, s48, s3
	s_add_u32 s3, s49, s3
	s_addc_u32 s49, 0, s52
	s_add_u32 s52, s2, s3
	s_cselect_b64 s[2:3], -1, 0
	s_cmp_lg_u64 s[2:3], 0
	s_addc_u32 s48, s48, s49
	s_mul_i32 s2, s24, s48
	s_mul_hi_u32 s3, s24, s52
	s_add_i32 s2, s3, s2
	s_mul_i32 s45, s45, s52
	s_add_i32 s2, s2, s45
	s_mul_i32 s24, s24, s52
	s_mul_hi_u32 s45, s48, s24
	s_mul_i32 s49, s48, s24
	s_mul_i32 s54, s52, s2
	s_mul_hi_u32 s24, s52, s24
	s_mul_hi_u32 s53, s52, s2
	s_add_u32 s24, s24, s54
	s_addc_u32 s53, 0, s53
	s_add_u32 s24, s24, s49
	s_mul_hi_u32 s3, s48, s2
	s_addc_u32 s24, s53, s45
	s_addc_u32 s3, s3, 0
	s_mul_i32 s2, s48, s2
	s_add_u32 s2, s24, s2
	s_addc_u32 s24, 0, s3
	s_add_u32 s45, s52, s2
	s_cselect_b64 s[2:3], -1, 0
	v_ashrrev_i32_e32 v1, 31, v4
	s_cmp_lg_u64 s[2:3], 0
	v_add_co_u32_e32 v7, vcc, v3, v1
	s_addc_u32 s24, s48, s24
	v_xor_b32_e32 v12, v7, v1
	v_mad_u64_u32 v[7:8], s[2:3], v12, s24, 0
	v_mul_hi_u32 v10, v12, s45
	v_addc_co_u32_e32 v9, vcc, v4, v1, vcc
	v_xor_b32_e32 v13, v9, v1
	v_add_co_u32_e32 v14, vcc, v10, v7
	v_addc_co_u32_e32 v15, vcc, 0, v8, vcc
	v_mad_u64_u32 v[7:8], s[2:3], v13, s45, 0
	v_mad_u64_u32 v[9:10], s[2:3], v13, s24, 0
	v_add_co_u32_e32 v7, vcc, v14, v7
	v_addc_co_u32_e32 v7, vcc, v15, v8, vcc
	v_addc_co_u32_e32 v8, vcc, 0, v10, vcc
	v_add_co_u32_e32 v9, vcc, v7, v9
	v_addc_co_u32_e32 v10, vcc, 0, v8, vcc
	v_mul_lo_u32 v14, s47, v9
	v_mul_lo_u32 v15, s46, v10
	v_mad_u64_u32 v[7:8], s[2:3], s46, v9, 0
	v_xor_b32_e32 v1, s44, v1
	v_add3_u32 v8, v8, v15, v14
	v_sub_u32_e32 v14, v13, v8
	v_mov_b32_e32 v15, s47
	v_sub_co_u32_e32 v7, vcc, v12, v7
	v_subb_co_u32_e64 v12, s[2:3], v14, v15, vcc
	v_subrev_co_u32_e64 v14, s[2:3], s46, v7
	v_subbrev_co_u32_e64 v12, s[2:3], 0, v12, s[2:3]
	v_cmp_le_u32_e64 s[2:3], s47, v12
	v_cndmask_b32_e64 v15, 0, -1, s[2:3]
	v_cmp_le_u32_e64 s[2:3], s46, v14
	v_cndmask_b32_e64 v14, 0, -1, s[2:3]
	v_cmp_eq_u32_e64 s[2:3], s47, v12
	v_cndmask_b32_e64 v12, v15, v14, s[2:3]
	v_add_co_u32_e64 v14, s[2:3], 2, v9
	v_subb_co_u32_e32 v8, vcc, v13, v8, vcc
	v_addc_co_u32_e64 v15, s[2:3], 0, v10, s[2:3]
	v_cmp_le_u32_e32 vcc, s47, v8
	v_add_co_u32_e64 v16, s[2:3], 1, v9
	v_cndmask_b32_e64 v13, 0, -1, vcc
	v_cmp_le_u32_e32 vcc, s46, v7
	v_addc_co_u32_e64 v17, s[2:3], 0, v10, s[2:3]
	v_cndmask_b32_e64 v7, 0, -1, vcc
	v_cmp_eq_u32_e32 vcc, s47, v8
	v_cmp_ne_u32_e64 s[2:3], 0, v12
	v_cndmask_b32_e32 v7, v13, v7, vcc
	v_cndmask_b32_e64 v12, v17, v15, s[2:3]
	v_cmp_ne_u32_e32 vcc, 0, v7
	v_cndmask_b32_e64 v8, v16, v14, s[2:3]
	v_cndmask_b32_e32 v7, v10, v12, vcc
	v_cndmask_b32_e32 v8, v9, v8, vcc
	v_xor_b32_e32 v9, v7, v1
	v_xor_b32_e32 v7, v8, v1
	v_sub_co_u32_e32 v7, vcc, v7, v1
	v_subb_co_u32_e32 v8, vcc, v9, v1, vcc
.LBB4_22:
	s_andn2_saveexec_b64 s[2:3], s[42:43]
	s_cbranch_execz .LBB4_24
; %bb.23:
	v_cvt_f32_u32_e32 v1, s16
	s_sub_i32 s24, 0, s16
	v_rcp_iflag_f32_e32 v1, v1
	v_mul_f32_e32 v1, 0x4f7ffffe, v1
	v_cvt_u32_f32_e32 v1, v1
	v_mul_lo_u32 v7, s24, v1
	v_mul_hi_u32 v7, v1, v7
	v_add_u32_e32 v1, v1, v7
	v_mul_hi_u32 v1, v3, v1
	v_mul_lo_u32 v7, v1, s16
	v_add_u32_e32 v8, 1, v1
	v_sub_u32_e32 v7, v3, v7
	v_subrev_u32_e32 v9, s16, v7
	v_cmp_le_u32_e32 vcc, s16, v7
	v_cndmask_b32_e32 v7, v7, v9, vcc
	v_cndmask_b32_e32 v1, v1, v8, vcc
	v_add_u32_e32 v8, 1, v1
	v_cmp_le_u32_e32 vcc, s16, v7
	v_cndmask_b32_e32 v7, v1, v8, vcc
	v_mov_b32_e32 v8, 0
.LBB4_24:
	s_or_b64 exec, exec, s[2:3]
	v_mul_lo_u32 v1, v6, s16
	v_mul_lo_u32 v12, v5, s17
	v_mad_u64_u32 v[9:10], s[2:3], v5, s16, 0
	v_add3_u32 v10, v10, v12, v1
	v_cmp_gt_i64_e32 vcc, v[9:10], v[3:4]
	v_mov_b32_e32 v1, s15
	v_add_co_u32_e64 v9, s[2:3], s14, v9
	v_addc_co_u32_e64 v10, s[2:3], v10, v1, s[2:3]
	v_cmp_ge_i64_e64 s[2:3], v[3:4], v[9:10]
	s_or_b64 s[2:3], vcc, s[2:3]
	v_cndmask_b32_e64 v1, 0, 1, s[2:3]
	v_add_co_u32_e32 v9, vcc, v5, v1
	v_addc_co_u32_e32 v10, vcc, 0, v6, vcc
	v_cmp_gt_i64_e32 vcc, s[4:5], v[7:8]
	v_mov_b32_e32 v1, s5
	v_cndmask_b32_e32 v6, v1, v8, vcc
	v_mov_b32_e32 v1, s4
	v_cndmask_b32_e32 v5, v1, v7, vcc
	v_cmp_le_i64_e32 vcc, v[9:10], v[5:6]
	s_and_saveexec_b64 s[42:43], vcc
	s_cbranch_execz .LBB4_27
; %bb.25:
	global_load_ushort v12, v2, s[8:9]
	v_mul_lo_u32 v14, s17, v9
	v_mul_lo_u32 v15, s16, v10
	v_mad_u64_u32 v[7:8], s[2:3], s16, v9, 0
	v_mov_b32_e32 v13, s9
	v_add_co_u32_e32 v1, vcc, s8, v2
	v_addc_co_u32_e32 v2, vcc, 0, v13, vcc
	v_add3_u32 v8, v8, v15, v14
	v_sub_co_u32_e32 v3, vcc, v3, v7
	v_subb_co_u32_e32 v4, vcc, v4, v8, vcc
	v_mul_lo_u32 v15, s23, v3
	v_mul_lo_u32 v16, s22, v4
	v_mad_u64_u32 v[7:8], s[2:3], s22, v3, 0
	v_mul_lo_u32 v17, s21, v9
	v_mul_lo_u32 v18, s20, v10
	v_mad_u64_u32 v[13:14], s[2:3], s20, v9, 0
	v_add_co_u32_e32 v3, vcc, -1, v9
	v_add3_u32 v8, v8, v16, v15
	v_add3_u32 v14, v14, v18, v17
	v_addc_co_u32_e32 v4, vcc, -1, v10, vcc
	v_lshlrev_b64 v[7:8], 1, v[7:8]
	v_lshlrev_b64 v[9:10], 1, v[13:14]
	s_mul_i32 s24, s16, s23
	v_add_co_u32_e32 v7, vcc, v7, v9
	s_mul_hi_u32 s44, s16, s22
	v_addc_co_u32_e32 v8, vcc, v8, v10, vcc
	s_add_i32 s24, s44, s24
	s_mul_i32 s44, s17, s22
	v_add_co_u32_e32 v0, vcc, v7, v0
	s_add_i32 s45, s24, s44
	s_mul_i32 s44, s16, s22
	v_addc_co_u32_e32 v8, vcc, 0, v8, vcc
	s_lshl_b64 s[2:3], s[20:21], 1
	s_lshl_b64 s[44:45], s[44:45], 1
	v_mov_b32_e32 v9, s11
	v_add_co_u32_e32 v7, vcc, s10, v0
	s_sub_u32 s24, s2, s44
	v_addc_co_u32_e32 v8, vcc, v9, v8, vcc
	s_subb_u32 s46, s3, s45
	s_mov_b64 s[44:45], 0
.LBB4_26:                               ; =>This Inner Loop Header: Depth=1
	global_load_ushort v0, v[7:8], off
	v_add_co_u32_e32 v3, vcc, 1, v3
	v_addc_co_u32_e32 v4, vcc, 0, v4, vcc
	v_cmp_ge_i64_e64 s[2:3], v[3:4], v[5:6]
	v_mov_b32_e32 v9, s46
	v_add_co_u32_e32 v7, vcc, s24, v7
	v_addc_co_u32_e32 v8, vcc, v8, v9, vcc
	s_or_b64 s[44:45], s[2:3], s[44:45]
	s_waitcnt vmcnt(0)
	v_add_u16_e32 v12, v0, v12
	global_store_short v[1:2], v12, off
	s_andn2_b64 exec, exec, s[44:45]
	s_cbranch_execnz .LBB4_26
.LBB4_27:
	s_or_b64 exec, exec, s[42:43]
	v_add_u32_e32 v11, 0x100, v11
	s_or_b64 exec, exec, s[18:19]
	v_cmp_gt_i32_e32 vcc, s51, v11
	s_and_saveexec_b64 s[18:19], vcc
	s_cbranch_execz .LBB4_2
.LBB4_28:
	s_and_b64 vcc, exec, s[0:1]
	s_cbranch_vccnz .LBB4_35
; %bb.29:
	v_mov_b32_e32 v2, 0
	s_andn2_b64 vcc, exec, s[40:41]
	v_mov_b32_e32 v0, 0
	v_mov_b32_e32 v4, 0
	s_cbranch_vccnz .LBB4_34
; %bb.30:
	s_add_i32 s2, s31, 1
	s_and_b32 s24, s2, 30
	s_add_u32 s2, s33, 0xffffffe8
	s_addc_u32 s3, s50, -1
	v_mov_b32_e32 v4, 0
	v_mov_b32_e32 v0, 0
	v_mov_b32_e32 v2, 0
	v_mov_b32_e32 v1, v11
.LBB4_31:                               ; =>This Inner Loop Header: Depth=1
	s_load_dwordx4 s[44:47], s[2:3], 0x1c
	s_load_dwordx2 s[42:43], s[2:3], 0x2c
	s_load_dwordx2 s[48:49], s[2:3], 0xec
	s_load_dwordx4 s[52:55], s[2:3], 0xdc
	s_add_u32 s2, s2, 24
	s_waitcnt lgkmcnt(0)
	v_mul_hi_u32 v3, s45, v1
	s_addc_u32 s3, s3, 0
	s_add_i32 s24, s24, -2
	s_cmp_eq_u32 s24, 0
	v_add_u32_e32 v3, v1, v3
	v_lshrrev_b32_e32 v3, s46, v3
	v_mul_lo_u32 v5, v3, s44
	v_mul_hi_u32 v6, s42, v3
	v_sub_u32_e32 v5, v1, v5
	v_add_u32_e32 v1, v3, v6
	v_lshrrev_b32_e32 v1, s43, v1
	v_mul_lo_u32 v8, v1, s47
	v_mul_lo_u32 v6, v5, s52
	;; [unrolled: 1-line block ×4, first 2 shown]
	v_sub_u32_e32 v3, v3, v8
	v_mul_lo_u32 v8, v3, s55
	v_mul_lo_u32 v9, v3, s48
	;; [unrolled: 1-line block ×3, first 2 shown]
	v_add3_u32 v2, v6, v2, v8
	v_add3_u32 v0, v7, v0, v9
	;; [unrolled: 1-line block ×3, first 2 shown]
	s_cbranch_scc0 .LBB4_31
; %bb.32:
	s_bitcmp1_b32 s31, 0
	s_cselect_b64 s[42:43], -1, 0
	s_and_b64 vcc, exec, s[42:43]
	s_cbranch_vccnz .LBB4_34
; %bb.33:
	s_load_dwordx2 s[42:43], s[2:3], 0x1c
	s_load_dword s24, s[2:3], 0x24
	s_load_dwordx2 s[44:45], s[2:3], 0xdc
	s_waitcnt lgkmcnt(0)
	v_mul_hi_u32 v3, s43, v1
	v_add_u32_e32 v3, v1, v3
	v_lshrrev_b32_e32 v3, s24, v3
	v_mul_lo_u32 v3, v3, s42
	s_load_dword s24, s[2:3], 0xe4
	v_sub_u32_e32 v5, v1, v3
	v_mad_u64_u32 v[2:3], s[2:3], v5, s44, v[2:3]
	v_mad_u64_u32 v[0:1], s[2:3], v5, s45, v[0:1]
	s_waitcnt lgkmcnt(0)
	v_mad_u64_u32 v[4:5], s[2:3], v5, s24, v[4:5]
.LBB4_34:
	s_cbranch_execz .LBB4_36
	s_branch .LBB4_38
.LBB4_35:
                                        ; implicit-def: $vgpr2
                                        ; implicit-def: $vgpr0
                                        ; implicit-def: $vgpr4
.LBB4_36:
	v_mul_hi_u32 v0, s26, v11
	s_andn2_b64 vcc, exec, s[34:35]
	v_add_u32_e32 v0, v11, v0
	v_lshrrev_b32_e32 v1, s27, v0
	v_mul_lo_u32 v0, v1, s25
	v_sub_u32_e32 v3, v11, v0
	v_mul_lo_u32 v2, v3, s36
	v_mul_lo_u32 v0, v3, s37
	;; [unrolled: 1-line block ×3, first 2 shown]
	s_cbranch_vccnz .LBB4_38
; %bb.37:
	v_mul_hi_u32 v3, s29, v1
	v_add_u32_e32 v3, v1, v3
	v_lshrrev_b32_e32 v3, s30, v3
	v_mul_lo_u32 v3, v3, s28
	v_sub_u32_e32 v5, v1, v3
	v_mad_u64_u32 v[2:3], s[2:3], v5, s39, v[2:3]
	v_mad_u64_u32 v[0:1], s[2:3], v5, s6, v[0:1]
	;; [unrolled: 1-line block ×3, first 2 shown]
.LBB4_38:
	global_load_dwordx2 v[3:4], v4, s[12:13]
	v_mov_b32_e32 v5, 0
	v_mov_b32_e32 v6, 0
	s_waitcnt vmcnt(0)
	v_cmp_lt_i64_e32 vcc, s[14:15], v[3:4]
	s_and_saveexec_b64 s[42:43], vcc
	s_cbranch_execz .LBB4_44
; %bb.39:
	v_mov_b32_e32 v5, s15
	v_subrev_co_u32_e32 v1, vcc, s14, v3
	v_subb_co_u32_e32 v7, vcc, v4, v5, vcc
	v_or_b32_e32 v6, s17, v7
	v_mov_b32_e32 v5, 0
	v_cmp_ne_u64_e32 vcc, 0, v[5:6]
                                        ; implicit-def: $vgpr5_vgpr6
	s_and_saveexec_b64 s[2:3], vcc
	s_xor_b64 s[44:45], exec, s[2:3]
	s_cbranch_execz .LBB4_41
; %bb.40:
	s_ashr_i32 s46, s17, 31
	s_add_u32 s2, s16, s46
	s_mov_b32 s47, s46
	s_addc_u32 s3, s17, s46
	s_xor_b64 s[48:49], s[2:3], s[46:47]
	v_cvt_f32_u32_e32 v5, s48
	v_cvt_f32_u32_e32 v6, s49
	s_sub_u32 s24, 0, s48
	s_subb_u32 s47, 0, s49
	v_ashrrev_i32_e32 v9, 31, v7
	v_madmk_f32 v5, v6, 0x4f800000, v5
	v_rcp_f32_e32 v5, v5
	v_add_co_u32_e32 v1, vcc, v1, v9
	v_xor_b32_e32 v1, v1, v9
	v_mul_f32_e32 v5, 0x5f7ffffc, v5
	v_mul_f32_e32 v6, 0x2f800000, v5
	v_trunc_f32_e32 v6, v6
	v_madmk_f32 v5, v6, 0xcf800000, v5
	v_cvt_u32_f32_e32 v6, v6
	v_cvt_u32_f32_e32 v5, v5
	v_addc_co_u32_e32 v7, vcc, v7, v9, vcc
	v_readfirstlane_b32 s52, v6
	v_readfirstlane_b32 s2, v5
	s_mul_i32 s3, s24, s52
	s_mul_hi_u32 s54, s24, s2
	s_mul_i32 s53, s47, s2
	s_add_i32 s3, s54, s3
	s_add_i32 s3, s3, s53
	s_mul_i32 s55, s24, s2
	s_mul_i32 s54, s2, s3
	s_mul_hi_u32 s56, s2, s55
	s_mul_hi_u32 s53, s2, s3
	s_add_u32 s54, s56, s54
	s_addc_u32 s53, 0, s53
	s_mul_hi_u32 s57, s52, s55
	s_mul_i32 s55, s52, s55
	s_add_u32 s54, s54, s55
	s_mul_hi_u32 s56, s52, s3
	s_addc_u32 s53, s53, s57
	s_addc_u32 s54, s56, 0
	s_mul_i32 s3, s52, s3
	s_add_u32 s3, s53, s3
	s_addc_u32 s53, 0, s54
	s_add_u32 s54, s2, s3
	s_cselect_b64 s[2:3], -1, 0
	s_cmp_lg_u64 s[2:3], 0
	s_addc_u32 s52, s52, s53
	s_mul_i32 s2, s24, s52
	s_mul_hi_u32 s3, s24, s54
	s_add_i32 s2, s3, s2
	s_mul_i32 s47, s47, s54
	s_add_i32 s2, s2, s47
	s_mul_i32 s24, s24, s54
	s_mul_hi_u32 s47, s52, s24
	s_mul_i32 s53, s52, s24
	s_mul_i32 s56, s54, s2
	s_mul_hi_u32 s24, s54, s24
	s_mul_hi_u32 s55, s54, s2
	s_add_u32 s24, s24, s56
	s_addc_u32 s55, 0, s55
	s_add_u32 s24, s24, s53
	s_mul_hi_u32 s3, s52, s2
	s_addc_u32 s24, s55, s47
	s_addc_u32 s3, s3, 0
	s_mul_i32 s2, s52, s2
	s_add_u32 s2, s24, s2
	s_addc_u32 s24, 0, s3
	s_add_u32 s47, s54, s2
	s_cselect_b64 s[2:3], -1, 0
	s_cmp_lg_u64 s[2:3], 0
	s_addc_u32 s24, s52, s24
	v_mad_u64_u32 v[5:6], s[2:3], v1, s24, 0
	v_mul_hi_u32 v8, v1, s47
	v_xor_b32_e32 v10, v7, v9
	v_add_co_u32_e32 v12, vcc, v8, v5
	v_addc_co_u32_e32 v13, vcc, 0, v6, vcc
	v_mad_u64_u32 v[5:6], s[2:3], v10, s47, 0
	v_mad_u64_u32 v[7:8], s[2:3], v10, s24, 0
	v_add_co_u32_e32 v5, vcc, v12, v5
	v_addc_co_u32_e32 v5, vcc, v13, v6, vcc
	v_addc_co_u32_e32 v6, vcc, 0, v8, vcc
	v_add_co_u32_e32 v7, vcc, v5, v7
	v_addc_co_u32_e32 v8, vcc, 0, v6, vcc
	v_mul_lo_u32 v12, s49, v7
	v_mul_lo_u32 v13, s48, v8
	v_mad_u64_u32 v[5:6], s[2:3], s48, v7, 0
	v_add3_u32 v6, v6, v13, v12
	v_sub_u32_e32 v12, v10, v6
	v_mov_b32_e32 v13, s49
	v_sub_co_u32_e32 v1, vcc, v1, v5
	v_subb_co_u32_e64 v5, s[2:3], v12, v13, vcc
	v_subrev_co_u32_e64 v12, s[2:3], s48, v1
	v_subbrev_co_u32_e64 v5, s[2:3], 0, v5, s[2:3]
	v_cmp_le_u32_e64 s[2:3], s49, v5
	v_cndmask_b32_e64 v13, 0, -1, s[2:3]
	v_cmp_le_u32_e64 s[2:3], s48, v12
	v_cndmask_b32_e64 v12, 0, -1, s[2:3]
	v_cmp_eq_u32_e64 s[2:3], s49, v5
	v_cndmask_b32_e64 v5, v13, v12, s[2:3]
	v_add_co_u32_e64 v12, s[2:3], 2, v7
	v_subb_co_u32_e32 v6, vcc, v10, v6, vcc
	v_addc_co_u32_e64 v13, s[2:3], 0, v8, s[2:3]
	v_cmp_le_u32_e32 vcc, s49, v6
	v_add_co_u32_e64 v14, s[2:3], 1, v7
	v_cndmask_b32_e64 v10, 0, -1, vcc
	v_cmp_le_u32_e32 vcc, s48, v1
	v_addc_co_u32_e64 v15, s[2:3], 0, v8, s[2:3]
	v_cndmask_b32_e64 v1, 0, -1, vcc
	v_cmp_eq_u32_e32 vcc, s49, v6
	v_cmp_ne_u32_e64 s[2:3], 0, v5
	v_cndmask_b32_e32 v1, v10, v1, vcc
	v_cndmask_b32_e64 v5, v15, v13, s[2:3]
	v_cmp_ne_u32_e32 vcc, 0, v1
	v_cndmask_b32_e32 v1, v8, v5, vcc
	v_cndmask_b32_e64 v5, v14, v12, s[2:3]
	v_cndmask_b32_e32 v5, v7, v5, vcc
	v_xor_b32_e32 v6, s46, v9
	v_xor_b32_e32 v5, v5, v6
	;; [unrolled: 1-line block ×3, first 2 shown]
	v_sub_co_u32_e32 v5, vcc, v5, v6
	v_subb_co_u32_e32 v6, vcc, v1, v6, vcc
                                        ; implicit-def: $vgpr1
.LBB4_41:
	s_andn2_saveexec_b64 s[2:3], s[44:45]
	s_cbranch_execz .LBB4_43
; %bb.42:
	v_cvt_f32_u32_e32 v5, s16
	s_sub_i32 s24, 0, s16
	v_rcp_iflag_f32_e32 v5, v5
	v_mul_f32_e32 v5, 0x4f7ffffe, v5
	v_cvt_u32_f32_e32 v5, v5
	v_mul_lo_u32 v6, s24, v5
	v_mul_hi_u32 v6, v5, v6
	v_add_u32_e32 v5, v5, v6
	v_mul_hi_u32 v5, v1, v5
	v_mul_lo_u32 v6, v5, s16
	v_add_u32_e32 v7, 1, v5
	v_sub_u32_e32 v1, v1, v6
	v_subrev_u32_e32 v6, s16, v1
	v_cmp_le_u32_e32 vcc, s16, v1
	v_cndmask_b32_e32 v1, v1, v6, vcc
	v_cndmask_b32_e32 v5, v5, v7, vcc
	v_add_u32_e32 v6, 1, v5
	v_cmp_le_u32_e32 vcc, s16, v1
	v_cndmask_b32_e32 v5, v5, v6, vcc
	v_mov_b32_e32 v6, 0
.LBB4_43:
	s_or_b64 exec, exec, s[2:3]
.LBB4_44:
	s_or_b64 exec, exec, s[42:43]
	v_or_b32_e32 v8, s17, v4
	v_mov_b32_e32 v7, 0
	v_cmp_ne_u64_e32 vcc, 0, v[7:8]
                                        ; implicit-def: $vgpr7_vgpr8
	s_and_saveexec_b64 s[2:3], vcc
	s_xor_b64 s[42:43], exec, s[2:3]
	s_cbranch_execz .LBB4_46
; %bb.45:
	s_ashr_i32 s44, s17, 31
	s_add_u32 s2, s16, s44
	s_mov_b32 s45, s44
	s_addc_u32 s3, s17, s44
	s_xor_b64 s[46:47], s[2:3], s[44:45]
	v_cvt_f32_u32_e32 v1, s46
	v_cvt_f32_u32_e32 v7, s47
	s_sub_u32 s24, 0, s46
	s_subb_u32 s45, 0, s47
	v_madmk_f32 v1, v7, 0x4f800000, v1
	v_rcp_f32_e32 v1, v1
	v_mul_f32_e32 v1, 0x5f7ffffc, v1
	v_mul_f32_e32 v7, 0x2f800000, v1
	v_trunc_f32_e32 v7, v7
	v_madmk_f32 v1, v7, 0xcf800000, v1
	v_cvt_u32_f32_e32 v7, v7
	v_cvt_u32_f32_e32 v1, v1
	v_readfirstlane_b32 s48, v7
	v_readfirstlane_b32 s2, v1
	s_mul_i32 s3, s24, s48
	s_mul_hi_u32 s52, s24, s2
	s_mul_i32 s49, s45, s2
	s_add_i32 s3, s52, s3
	s_add_i32 s3, s3, s49
	s_mul_i32 s53, s24, s2
	s_mul_i32 s52, s2, s3
	s_mul_hi_u32 s54, s2, s53
	s_mul_hi_u32 s49, s2, s3
	s_add_u32 s52, s54, s52
	s_addc_u32 s49, 0, s49
	s_mul_hi_u32 s55, s48, s53
	s_mul_i32 s53, s48, s53
	s_add_u32 s52, s52, s53
	s_mul_hi_u32 s54, s48, s3
	s_addc_u32 s49, s49, s55
	s_addc_u32 s52, s54, 0
	s_mul_i32 s3, s48, s3
	s_add_u32 s3, s49, s3
	s_addc_u32 s49, 0, s52
	s_add_u32 s52, s2, s3
	s_cselect_b64 s[2:3], -1, 0
	s_cmp_lg_u64 s[2:3], 0
	s_addc_u32 s48, s48, s49
	s_mul_i32 s2, s24, s48
	s_mul_hi_u32 s3, s24, s52
	s_add_i32 s2, s3, s2
	s_mul_i32 s45, s45, s52
	s_add_i32 s2, s2, s45
	s_mul_i32 s24, s24, s52
	s_mul_hi_u32 s45, s48, s24
	s_mul_i32 s49, s48, s24
	s_mul_i32 s54, s52, s2
	s_mul_hi_u32 s24, s52, s24
	s_mul_hi_u32 s53, s52, s2
	s_add_u32 s24, s24, s54
	s_addc_u32 s53, 0, s53
	s_add_u32 s24, s24, s49
	s_mul_hi_u32 s3, s48, s2
	s_addc_u32 s24, s53, s45
	s_addc_u32 s3, s3, 0
	s_mul_i32 s2, s48, s2
	s_add_u32 s2, s24, s2
	s_addc_u32 s24, 0, s3
	s_add_u32 s45, s52, s2
	s_cselect_b64 s[2:3], -1, 0
	v_ashrrev_i32_e32 v1, 31, v4
	s_cmp_lg_u64 s[2:3], 0
	v_add_co_u32_e32 v7, vcc, v3, v1
	s_addc_u32 s24, s48, s24
	v_xor_b32_e32 v12, v7, v1
	v_mad_u64_u32 v[7:8], s[2:3], v12, s24, 0
	v_mul_hi_u32 v10, v12, s45
	v_addc_co_u32_e32 v9, vcc, v4, v1, vcc
	v_xor_b32_e32 v13, v9, v1
	v_add_co_u32_e32 v14, vcc, v10, v7
	v_addc_co_u32_e32 v15, vcc, 0, v8, vcc
	v_mad_u64_u32 v[7:8], s[2:3], v13, s45, 0
	v_mad_u64_u32 v[9:10], s[2:3], v13, s24, 0
	v_add_co_u32_e32 v7, vcc, v14, v7
	v_addc_co_u32_e32 v7, vcc, v15, v8, vcc
	v_addc_co_u32_e32 v8, vcc, 0, v10, vcc
	v_add_co_u32_e32 v9, vcc, v7, v9
	v_addc_co_u32_e32 v10, vcc, 0, v8, vcc
	v_mul_lo_u32 v14, s47, v9
	v_mul_lo_u32 v15, s46, v10
	v_mad_u64_u32 v[7:8], s[2:3], s46, v9, 0
	v_xor_b32_e32 v1, s44, v1
	v_add3_u32 v8, v8, v15, v14
	v_sub_u32_e32 v14, v13, v8
	v_mov_b32_e32 v15, s47
	v_sub_co_u32_e32 v7, vcc, v12, v7
	v_subb_co_u32_e64 v12, s[2:3], v14, v15, vcc
	v_subrev_co_u32_e64 v14, s[2:3], s46, v7
	v_subbrev_co_u32_e64 v12, s[2:3], 0, v12, s[2:3]
	v_cmp_le_u32_e64 s[2:3], s47, v12
	v_cndmask_b32_e64 v15, 0, -1, s[2:3]
	v_cmp_le_u32_e64 s[2:3], s46, v14
	v_cndmask_b32_e64 v14, 0, -1, s[2:3]
	v_cmp_eq_u32_e64 s[2:3], s47, v12
	v_cndmask_b32_e64 v12, v15, v14, s[2:3]
	v_add_co_u32_e64 v14, s[2:3], 2, v9
	v_subb_co_u32_e32 v8, vcc, v13, v8, vcc
	v_addc_co_u32_e64 v15, s[2:3], 0, v10, s[2:3]
	v_cmp_le_u32_e32 vcc, s47, v8
	v_add_co_u32_e64 v16, s[2:3], 1, v9
	v_cndmask_b32_e64 v13, 0, -1, vcc
	v_cmp_le_u32_e32 vcc, s46, v7
	v_addc_co_u32_e64 v17, s[2:3], 0, v10, s[2:3]
	v_cndmask_b32_e64 v7, 0, -1, vcc
	v_cmp_eq_u32_e32 vcc, s47, v8
	v_cmp_ne_u32_e64 s[2:3], 0, v12
	v_cndmask_b32_e32 v7, v13, v7, vcc
	v_cndmask_b32_e64 v12, v17, v15, s[2:3]
	v_cmp_ne_u32_e32 vcc, 0, v7
	v_cndmask_b32_e64 v8, v16, v14, s[2:3]
	v_cndmask_b32_e32 v7, v10, v12, vcc
	v_cndmask_b32_e32 v8, v9, v8, vcc
	v_xor_b32_e32 v9, v7, v1
	v_xor_b32_e32 v7, v8, v1
	v_sub_co_u32_e32 v7, vcc, v7, v1
	v_subb_co_u32_e32 v8, vcc, v9, v1, vcc
.LBB4_46:
	s_andn2_saveexec_b64 s[2:3], s[42:43]
	s_cbranch_execz .LBB4_48
; %bb.47:
	v_cvt_f32_u32_e32 v1, s16
	s_sub_i32 s24, 0, s16
	v_rcp_iflag_f32_e32 v1, v1
	v_mul_f32_e32 v1, 0x4f7ffffe, v1
	v_cvt_u32_f32_e32 v1, v1
	v_mul_lo_u32 v7, s24, v1
	v_mul_hi_u32 v7, v1, v7
	v_add_u32_e32 v1, v1, v7
	v_mul_hi_u32 v1, v3, v1
	v_mul_lo_u32 v7, v1, s16
	v_add_u32_e32 v8, 1, v1
	v_sub_u32_e32 v7, v3, v7
	v_subrev_u32_e32 v9, s16, v7
	v_cmp_le_u32_e32 vcc, s16, v7
	v_cndmask_b32_e32 v7, v7, v9, vcc
	v_cndmask_b32_e32 v1, v1, v8, vcc
	v_add_u32_e32 v8, 1, v1
	v_cmp_le_u32_e32 vcc, s16, v7
	v_cndmask_b32_e32 v7, v1, v8, vcc
	v_mov_b32_e32 v8, 0
.LBB4_48:
	s_or_b64 exec, exec, s[2:3]
	v_mul_lo_u32 v1, v6, s16
	v_mul_lo_u32 v12, v5, s17
	v_mad_u64_u32 v[9:10], s[2:3], v5, s16, 0
	v_add3_u32 v10, v10, v12, v1
	v_cmp_gt_i64_e32 vcc, v[9:10], v[3:4]
	v_mov_b32_e32 v1, s15
	v_add_co_u32_e64 v9, s[2:3], s14, v9
	v_addc_co_u32_e64 v10, s[2:3], v10, v1, s[2:3]
	v_cmp_ge_i64_e64 s[2:3], v[3:4], v[9:10]
	s_or_b64 s[2:3], vcc, s[2:3]
	v_cndmask_b32_e64 v1, 0, 1, s[2:3]
	v_add_co_u32_e32 v9, vcc, v5, v1
	v_addc_co_u32_e32 v10, vcc, 0, v6, vcc
	v_cmp_gt_i64_e32 vcc, s[4:5], v[7:8]
	v_mov_b32_e32 v1, s5
	v_cndmask_b32_e32 v6, v1, v8, vcc
	v_mov_b32_e32 v1, s4
	v_cndmask_b32_e32 v5, v1, v7, vcc
	v_cmp_le_i64_e32 vcc, v[9:10], v[5:6]
	s_and_saveexec_b64 s[42:43], vcc
	s_cbranch_execz .LBB4_51
; %bb.49:
	global_load_ushort v12, v2, s[8:9]
	v_mul_lo_u32 v14, s17, v9
	v_mul_lo_u32 v15, s16, v10
	v_mad_u64_u32 v[7:8], s[2:3], s16, v9, 0
	v_mov_b32_e32 v13, s9
	v_add_co_u32_e32 v1, vcc, s8, v2
	v_addc_co_u32_e32 v2, vcc, 0, v13, vcc
	v_add3_u32 v8, v8, v15, v14
	v_sub_co_u32_e32 v3, vcc, v3, v7
	v_subb_co_u32_e32 v4, vcc, v4, v8, vcc
	v_mul_lo_u32 v15, s23, v3
	v_mul_lo_u32 v16, s22, v4
	v_mad_u64_u32 v[7:8], s[2:3], s22, v3, 0
	v_mul_lo_u32 v17, s21, v9
	v_mul_lo_u32 v18, s20, v10
	v_mad_u64_u32 v[13:14], s[2:3], s20, v9, 0
	v_add_co_u32_e32 v3, vcc, -1, v9
	v_add3_u32 v8, v8, v16, v15
	v_add3_u32 v14, v14, v18, v17
	v_addc_co_u32_e32 v4, vcc, -1, v10, vcc
	v_lshlrev_b64 v[7:8], 1, v[7:8]
	v_lshlrev_b64 v[9:10], 1, v[13:14]
	s_mul_i32 s24, s16, s23
	v_add_co_u32_e32 v7, vcc, v7, v9
	s_mul_hi_u32 s44, s16, s22
	v_addc_co_u32_e32 v8, vcc, v8, v10, vcc
	s_add_i32 s24, s44, s24
	s_mul_i32 s44, s17, s22
	v_add_co_u32_e32 v0, vcc, v7, v0
	s_add_i32 s45, s24, s44
	s_mul_i32 s44, s16, s22
	v_addc_co_u32_e32 v8, vcc, 0, v8, vcc
	s_lshl_b64 s[2:3], s[20:21], 1
	s_lshl_b64 s[44:45], s[44:45], 1
	v_mov_b32_e32 v9, s11
	v_add_co_u32_e32 v7, vcc, s10, v0
	s_sub_u32 s24, s2, s44
	v_addc_co_u32_e32 v8, vcc, v9, v8, vcc
	s_subb_u32 s46, s3, s45
	s_mov_b64 s[44:45], 0
.LBB4_50:                               ; =>This Inner Loop Header: Depth=1
	global_load_ushort v0, v[7:8], off
	v_add_co_u32_e32 v3, vcc, 1, v3
	v_addc_co_u32_e32 v4, vcc, 0, v4, vcc
	v_cmp_ge_i64_e64 s[2:3], v[3:4], v[5:6]
	v_mov_b32_e32 v9, s46
	v_add_co_u32_e32 v7, vcc, s24, v7
	v_addc_co_u32_e32 v8, vcc, v8, v9, vcc
	s_or_b64 s[44:45], s[2:3], s[44:45]
	s_waitcnt vmcnt(0)
	v_add_u16_e32 v12, v0, v12
	global_store_short v[1:2], v12, off
	s_andn2_b64 exec, exec, s[44:45]
	s_cbranch_execnz .LBB4_50
.LBB4_51:
	s_or_b64 exec, exec, s[42:43]
	v_add_u32_e32 v11, 0x100, v11
	s_or_b64 exec, exec, s[18:19]
	v_cmp_gt_i32_e32 vcc, s51, v11
	s_and_saveexec_b64 s[18:19], vcc
	s_cbranch_execz .LBB4_3
.LBB4_52:
	s_and_b64 vcc, exec, s[0:1]
	s_cbranch_vccnz .LBB4_59
; %bb.53:
	v_mov_b32_e32 v2, 0
	s_andn2_b64 vcc, exec, s[40:41]
	v_mov_b32_e32 v0, 0
	v_mov_b32_e32 v4, 0
	s_cbranch_vccnz .LBB4_58
; %bb.54:
	s_add_i32 s2, s31, 1
	s_and_b32 s24, s2, 30
	s_add_u32 s2, s33, 0xffffffe8
	s_addc_u32 s3, s50, -1
	v_mov_b32_e32 v4, 0
	v_mov_b32_e32 v0, 0
	;; [unrolled: 1-line block ×4, first 2 shown]
.LBB4_55:                               ; =>This Inner Loop Header: Depth=1
	s_load_dwordx4 s[44:47], s[2:3], 0x1c
	s_load_dwordx2 s[42:43], s[2:3], 0x2c
	s_load_dwordx2 s[48:49], s[2:3], 0xec
	s_load_dwordx4 s[52:55], s[2:3], 0xdc
	s_add_u32 s2, s2, 24
	s_waitcnt lgkmcnt(0)
	v_mul_hi_u32 v3, s45, v1
	s_addc_u32 s3, s3, 0
	s_add_i32 s24, s24, -2
	s_cmp_eq_u32 s24, 0
	v_add_u32_e32 v3, v1, v3
	v_lshrrev_b32_e32 v3, s46, v3
	v_mul_lo_u32 v5, v3, s44
	v_mul_hi_u32 v6, s42, v3
	v_sub_u32_e32 v5, v1, v5
	v_add_u32_e32 v1, v3, v6
	v_lshrrev_b32_e32 v1, s43, v1
	v_mul_lo_u32 v8, v1, s47
	v_mul_lo_u32 v6, v5, s52
	;; [unrolled: 1-line block ×4, first 2 shown]
	v_sub_u32_e32 v3, v3, v8
	v_mul_lo_u32 v8, v3, s55
	v_mul_lo_u32 v9, v3, s48
	;; [unrolled: 1-line block ×3, first 2 shown]
	v_add3_u32 v2, v6, v2, v8
	v_add3_u32 v0, v7, v0, v9
	;; [unrolled: 1-line block ×3, first 2 shown]
	s_cbranch_scc0 .LBB4_55
; %bb.56:
	s_bitcmp1_b32 s31, 0
	s_cselect_b64 s[42:43], -1, 0
	s_and_b64 vcc, exec, s[42:43]
	s_cbranch_vccnz .LBB4_58
; %bb.57:
	s_load_dwordx2 s[42:43], s[2:3], 0x1c
	s_load_dword s24, s[2:3], 0x24
	s_load_dwordx2 s[44:45], s[2:3], 0xdc
	s_waitcnt lgkmcnt(0)
	v_mul_hi_u32 v3, s43, v1
	v_add_u32_e32 v3, v1, v3
	v_lshrrev_b32_e32 v3, s24, v3
	v_mul_lo_u32 v3, v3, s42
	s_load_dword s24, s[2:3], 0xe4
	v_sub_u32_e32 v5, v1, v3
	v_mad_u64_u32 v[2:3], s[2:3], v5, s44, v[2:3]
	v_mad_u64_u32 v[0:1], s[2:3], v5, s45, v[0:1]
	s_waitcnt lgkmcnt(0)
	v_mad_u64_u32 v[4:5], s[2:3], v5, s24, v[4:5]
.LBB4_58:
	s_cbranch_execz .LBB4_60
	s_branch .LBB4_62
.LBB4_59:
                                        ; implicit-def: $vgpr2
                                        ; implicit-def: $vgpr0
                                        ; implicit-def: $vgpr4
.LBB4_60:
	v_mul_hi_u32 v0, s26, v11
	s_andn2_b64 vcc, exec, s[34:35]
	v_add_u32_e32 v0, v11, v0
	v_lshrrev_b32_e32 v1, s27, v0
	v_mul_lo_u32 v0, v1, s25
	v_sub_u32_e32 v3, v11, v0
	v_mul_lo_u32 v2, v3, s36
	v_mul_lo_u32 v0, v3, s37
	v_mul_lo_u32 v4, v3, s38
	s_cbranch_vccnz .LBB4_62
; %bb.61:
	v_mul_hi_u32 v3, s29, v1
	v_add_u32_e32 v3, v1, v3
	v_lshrrev_b32_e32 v3, s30, v3
	v_mul_lo_u32 v3, v3, s28
	v_sub_u32_e32 v5, v1, v3
	v_mad_u64_u32 v[2:3], s[2:3], v5, s39, v[2:3]
	v_mad_u64_u32 v[0:1], s[2:3], v5, s6, v[0:1]
	;; [unrolled: 1-line block ×3, first 2 shown]
.LBB4_62:
	global_load_dwordx2 v[3:4], v4, s[12:13]
	v_mov_b32_e32 v5, 0
	v_mov_b32_e32 v6, 0
	s_waitcnt vmcnt(0)
	v_cmp_lt_i64_e32 vcc, s[14:15], v[3:4]
	s_and_saveexec_b64 s[42:43], vcc
	s_cbranch_execz .LBB4_68
; %bb.63:
	v_mov_b32_e32 v5, s15
	v_subrev_co_u32_e32 v1, vcc, s14, v3
	v_subb_co_u32_e32 v7, vcc, v4, v5, vcc
	v_or_b32_e32 v6, s17, v7
	v_mov_b32_e32 v5, 0
	v_cmp_ne_u64_e32 vcc, 0, v[5:6]
                                        ; implicit-def: $vgpr5_vgpr6
	s_and_saveexec_b64 s[2:3], vcc
	s_xor_b64 s[44:45], exec, s[2:3]
	s_cbranch_execz .LBB4_65
; %bb.64:
	s_ashr_i32 s46, s17, 31
	s_add_u32 s2, s16, s46
	s_mov_b32 s47, s46
	s_addc_u32 s3, s17, s46
	s_xor_b64 s[48:49], s[2:3], s[46:47]
	v_cvt_f32_u32_e32 v5, s48
	v_cvt_f32_u32_e32 v6, s49
	s_sub_u32 s24, 0, s48
	s_subb_u32 s47, 0, s49
	v_ashrrev_i32_e32 v9, 31, v7
	v_madmk_f32 v5, v6, 0x4f800000, v5
	v_rcp_f32_e32 v5, v5
	v_add_co_u32_e32 v1, vcc, v1, v9
	v_xor_b32_e32 v1, v1, v9
	v_mul_f32_e32 v5, 0x5f7ffffc, v5
	v_mul_f32_e32 v6, 0x2f800000, v5
	v_trunc_f32_e32 v6, v6
	v_madmk_f32 v5, v6, 0xcf800000, v5
	v_cvt_u32_f32_e32 v6, v6
	v_cvt_u32_f32_e32 v5, v5
	v_addc_co_u32_e32 v7, vcc, v7, v9, vcc
	v_readfirstlane_b32 s52, v6
	v_readfirstlane_b32 s2, v5
	s_mul_i32 s3, s24, s52
	s_mul_hi_u32 s54, s24, s2
	s_mul_i32 s53, s47, s2
	s_add_i32 s3, s54, s3
	s_add_i32 s3, s3, s53
	s_mul_i32 s55, s24, s2
	s_mul_i32 s54, s2, s3
	s_mul_hi_u32 s56, s2, s55
	s_mul_hi_u32 s53, s2, s3
	s_add_u32 s54, s56, s54
	s_addc_u32 s53, 0, s53
	s_mul_hi_u32 s57, s52, s55
	s_mul_i32 s55, s52, s55
	s_add_u32 s54, s54, s55
	s_mul_hi_u32 s56, s52, s3
	s_addc_u32 s53, s53, s57
	s_addc_u32 s54, s56, 0
	s_mul_i32 s3, s52, s3
	s_add_u32 s3, s53, s3
	s_addc_u32 s53, 0, s54
	s_add_u32 s54, s2, s3
	s_cselect_b64 s[2:3], -1, 0
	s_cmp_lg_u64 s[2:3], 0
	s_addc_u32 s52, s52, s53
	s_mul_i32 s2, s24, s52
	s_mul_hi_u32 s3, s24, s54
	s_add_i32 s2, s3, s2
	s_mul_i32 s47, s47, s54
	s_add_i32 s2, s2, s47
	s_mul_i32 s24, s24, s54
	s_mul_hi_u32 s47, s52, s24
	s_mul_i32 s53, s52, s24
	s_mul_i32 s56, s54, s2
	s_mul_hi_u32 s24, s54, s24
	s_mul_hi_u32 s55, s54, s2
	s_add_u32 s24, s24, s56
	s_addc_u32 s55, 0, s55
	s_add_u32 s24, s24, s53
	s_mul_hi_u32 s3, s52, s2
	s_addc_u32 s24, s55, s47
	s_addc_u32 s3, s3, 0
	s_mul_i32 s2, s52, s2
	s_add_u32 s2, s24, s2
	s_addc_u32 s24, 0, s3
	s_add_u32 s47, s54, s2
	s_cselect_b64 s[2:3], -1, 0
	s_cmp_lg_u64 s[2:3], 0
	s_addc_u32 s24, s52, s24
	v_mad_u64_u32 v[5:6], s[2:3], v1, s24, 0
	v_mul_hi_u32 v8, v1, s47
	v_xor_b32_e32 v10, v7, v9
	v_add_co_u32_e32 v12, vcc, v8, v5
	v_addc_co_u32_e32 v13, vcc, 0, v6, vcc
	v_mad_u64_u32 v[5:6], s[2:3], v10, s47, 0
	v_mad_u64_u32 v[7:8], s[2:3], v10, s24, 0
	v_add_co_u32_e32 v5, vcc, v12, v5
	v_addc_co_u32_e32 v5, vcc, v13, v6, vcc
	v_addc_co_u32_e32 v6, vcc, 0, v8, vcc
	v_add_co_u32_e32 v7, vcc, v5, v7
	v_addc_co_u32_e32 v8, vcc, 0, v6, vcc
	v_mul_lo_u32 v12, s49, v7
	v_mul_lo_u32 v13, s48, v8
	v_mad_u64_u32 v[5:6], s[2:3], s48, v7, 0
	v_add3_u32 v6, v6, v13, v12
	v_sub_u32_e32 v12, v10, v6
	v_mov_b32_e32 v13, s49
	v_sub_co_u32_e32 v1, vcc, v1, v5
	v_subb_co_u32_e64 v5, s[2:3], v12, v13, vcc
	v_subrev_co_u32_e64 v12, s[2:3], s48, v1
	v_subbrev_co_u32_e64 v5, s[2:3], 0, v5, s[2:3]
	v_cmp_le_u32_e64 s[2:3], s49, v5
	v_cndmask_b32_e64 v13, 0, -1, s[2:3]
	v_cmp_le_u32_e64 s[2:3], s48, v12
	v_cndmask_b32_e64 v12, 0, -1, s[2:3]
	v_cmp_eq_u32_e64 s[2:3], s49, v5
	v_cndmask_b32_e64 v5, v13, v12, s[2:3]
	v_add_co_u32_e64 v12, s[2:3], 2, v7
	v_subb_co_u32_e32 v6, vcc, v10, v6, vcc
	v_addc_co_u32_e64 v13, s[2:3], 0, v8, s[2:3]
	v_cmp_le_u32_e32 vcc, s49, v6
	v_add_co_u32_e64 v14, s[2:3], 1, v7
	v_cndmask_b32_e64 v10, 0, -1, vcc
	v_cmp_le_u32_e32 vcc, s48, v1
	v_addc_co_u32_e64 v15, s[2:3], 0, v8, s[2:3]
	v_cndmask_b32_e64 v1, 0, -1, vcc
	v_cmp_eq_u32_e32 vcc, s49, v6
	v_cmp_ne_u32_e64 s[2:3], 0, v5
	v_cndmask_b32_e32 v1, v10, v1, vcc
	v_cndmask_b32_e64 v5, v15, v13, s[2:3]
	v_cmp_ne_u32_e32 vcc, 0, v1
	v_cndmask_b32_e32 v1, v8, v5, vcc
	v_cndmask_b32_e64 v5, v14, v12, s[2:3]
	v_cndmask_b32_e32 v5, v7, v5, vcc
	v_xor_b32_e32 v6, s46, v9
	v_xor_b32_e32 v5, v5, v6
	;; [unrolled: 1-line block ×3, first 2 shown]
	v_sub_co_u32_e32 v5, vcc, v5, v6
	v_subb_co_u32_e32 v6, vcc, v1, v6, vcc
                                        ; implicit-def: $vgpr1
.LBB4_65:
	s_andn2_saveexec_b64 s[2:3], s[44:45]
	s_cbranch_execz .LBB4_67
; %bb.66:
	v_cvt_f32_u32_e32 v5, s16
	s_sub_i32 s24, 0, s16
	v_rcp_iflag_f32_e32 v5, v5
	v_mul_f32_e32 v5, 0x4f7ffffe, v5
	v_cvt_u32_f32_e32 v5, v5
	v_mul_lo_u32 v6, s24, v5
	v_mul_hi_u32 v6, v5, v6
	v_add_u32_e32 v5, v5, v6
	v_mul_hi_u32 v5, v1, v5
	v_mul_lo_u32 v6, v5, s16
	v_add_u32_e32 v7, 1, v5
	v_sub_u32_e32 v1, v1, v6
	v_subrev_u32_e32 v6, s16, v1
	v_cmp_le_u32_e32 vcc, s16, v1
	v_cndmask_b32_e32 v1, v1, v6, vcc
	v_cndmask_b32_e32 v5, v5, v7, vcc
	v_add_u32_e32 v6, 1, v5
	v_cmp_le_u32_e32 vcc, s16, v1
	v_cndmask_b32_e32 v5, v5, v6, vcc
	v_mov_b32_e32 v6, 0
.LBB4_67:
	s_or_b64 exec, exec, s[2:3]
.LBB4_68:
	s_or_b64 exec, exec, s[42:43]
	v_or_b32_e32 v8, s17, v4
	v_mov_b32_e32 v7, 0
	v_cmp_ne_u64_e32 vcc, 0, v[7:8]
                                        ; implicit-def: $vgpr7_vgpr8
	s_and_saveexec_b64 s[2:3], vcc
	s_xor_b64 s[42:43], exec, s[2:3]
	s_cbranch_execz .LBB4_70
; %bb.69:
	s_ashr_i32 s44, s17, 31
	s_add_u32 s2, s16, s44
	s_mov_b32 s45, s44
	s_addc_u32 s3, s17, s44
	s_xor_b64 s[46:47], s[2:3], s[44:45]
	v_cvt_f32_u32_e32 v1, s46
	v_cvt_f32_u32_e32 v7, s47
	s_sub_u32 s24, 0, s46
	s_subb_u32 s45, 0, s47
	v_madmk_f32 v1, v7, 0x4f800000, v1
	v_rcp_f32_e32 v1, v1
	v_mul_f32_e32 v1, 0x5f7ffffc, v1
	v_mul_f32_e32 v7, 0x2f800000, v1
	v_trunc_f32_e32 v7, v7
	v_madmk_f32 v1, v7, 0xcf800000, v1
	v_cvt_u32_f32_e32 v7, v7
	v_cvt_u32_f32_e32 v1, v1
	v_readfirstlane_b32 s48, v7
	v_readfirstlane_b32 s2, v1
	s_mul_i32 s3, s24, s48
	s_mul_hi_u32 s52, s24, s2
	s_mul_i32 s49, s45, s2
	s_add_i32 s3, s52, s3
	s_add_i32 s3, s3, s49
	s_mul_i32 s53, s24, s2
	s_mul_i32 s52, s2, s3
	s_mul_hi_u32 s54, s2, s53
	s_mul_hi_u32 s49, s2, s3
	s_add_u32 s52, s54, s52
	s_addc_u32 s49, 0, s49
	s_mul_hi_u32 s55, s48, s53
	s_mul_i32 s53, s48, s53
	s_add_u32 s52, s52, s53
	s_mul_hi_u32 s54, s48, s3
	s_addc_u32 s49, s49, s55
	s_addc_u32 s52, s54, 0
	s_mul_i32 s3, s48, s3
	s_add_u32 s3, s49, s3
	s_addc_u32 s49, 0, s52
	s_add_u32 s52, s2, s3
	s_cselect_b64 s[2:3], -1, 0
	s_cmp_lg_u64 s[2:3], 0
	s_addc_u32 s48, s48, s49
	s_mul_i32 s2, s24, s48
	s_mul_hi_u32 s3, s24, s52
	s_add_i32 s2, s3, s2
	s_mul_i32 s45, s45, s52
	s_add_i32 s2, s2, s45
	s_mul_i32 s24, s24, s52
	s_mul_hi_u32 s45, s48, s24
	s_mul_i32 s49, s48, s24
	s_mul_i32 s54, s52, s2
	s_mul_hi_u32 s24, s52, s24
	s_mul_hi_u32 s53, s52, s2
	s_add_u32 s24, s24, s54
	s_addc_u32 s53, 0, s53
	s_add_u32 s24, s24, s49
	s_mul_hi_u32 s3, s48, s2
	s_addc_u32 s24, s53, s45
	s_addc_u32 s3, s3, 0
	s_mul_i32 s2, s48, s2
	s_add_u32 s2, s24, s2
	s_addc_u32 s24, 0, s3
	s_add_u32 s45, s52, s2
	s_cselect_b64 s[2:3], -1, 0
	v_ashrrev_i32_e32 v1, 31, v4
	s_cmp_lg_u64 s[2:3], 0
	v_add_co_u32_e32 v7, vcc, v3, v1
	s_addc_u32 s24, s48, s24
	v_xor_b32_e32 v12, v7, v1
	v_mad_u64_u32 v[7:8], s[2:3], v12, s24, 0
	v_mul_hi_u32 v10, v12, s45
	v_addc_co_u32_e32 v9, vcc, v4, v1, vcc
	v_xor_b32_e32 v13, v9, v1
	v_add_co_u32_e32 v14, vcc, v10, v7
	v_addc_co_u32_e32 v15, vcc, 0, v8, vcc
	v_mad_u64_u32 v[7:8], s[2:3], v13, s45, 0
	v_mad_u64_u32 v[9:10], s[2:3], v13, s24, 0
	v_add_co_u32_e32 v7, vcc, v14, v7
	v_addc_co_u32_e32 v7, vcc, v15, v8, vcc
	v_addc_co_u32_e32 v8, vcc, 0, v10, vcc
	v_add_co_u32_e32 v9, vcc, v7, v9
	v_addc_co_u32_e32 v10, vcc, 0, v8, vcc
	v_mul_lo_u32 v14, s47, v9
	v_mul_lo_u32 v15, s46, v10
	v_mad_u64_u32 v[7:8], s[2:3], s46, v9, 0
	v_xor_b32_e32 v1, s44, v1
	v_add3_u32 v8, v8, v15, v14
	v_sub_u32_e32 v14, v13, v8
	v_mov_b32_e32 v15, s47
	v_sub_co_u32_e32 v7, vcc, v12, v7
	v_subb_co_u32_e64 v12, s[2:3], v14, v15, vcc
	v_subrev_co_u32_e64 v14, s[2:3], s46, v7
	v_subbrev_co_u32_e64 v12, s[2:3], 0, v12, s[2:3]
	v_cmp_le_u32_e64 s[2:3], s47, v12
	v_cndmask_b32_e64 v15, 0, -1, s[2:3]
	v_cmp_le_u32_e64 s[2:3], s46, v14
	v_cndmask_b32_e64 v14, 0, -1, s[2:3]
	v_cmp_eq_u32_e64 s[2:3], s47, v12
	v_cndmask_b32_e64 v12, v15, v14, s[2:3]
	v_add_co_u32_e64 v14, s[2:3], 2, v9
	v_subb_co_u32_e32 v8, vcc, v13, v8, vcc
	v_addc_co_u32_e64 v15, s[2:3], 0, v10, s[2:3]
	v_cmp_le_u32_e32 vcc, s47, v8
	v_add_co_u32_e64 v16, s[2:3], 1, v9
	v_cndmask_b32_e64 v13, 0, -1, vcc
	v_cmp_le_u32_e32 vcc, s46, v7
	v_addc_co_u32_e64 v17, s[2:3], 0, v10, s[2:3]
	v_cndmask_b32_e64 v7, 0, -1, vcc
	v_cmp_eq_u32_e32 vcc, s47, v8
	v_cmp_ne_u32_e64 s[2:3], 0, v12
	v_cndmask_b32_e32 v7, v13, v7, vcc
	v_cndmask_b32_e64 v12, v17, v15, s[2:3]
	v_cmp_ne_u32_e32 vcc, 0, v7
	v_cndmask_b32_e64 v8, v16, v14, s[2:3]
	v_cndmask_b32_e32 v7, v10, v12, vcc
	v_cndmask_b32_e32 v8, v9, v8, vcc
	v_xor_b32_e32 v9, v7, v1
	v_xor_b32_e32 v7, v8, v1
	v_sub_co_u32_e32 v7, vcc, v7, v1
	v_subb_co_u32_e32 v8, vcc, v9, v1, vcc
.LBB4_70:
	s_andn2_saveexec_b64 s[2:3], s[42:43]
	s_cbranch_execz .LBB4_72
; %bb.71:
	v_cvt_f32_u32_e32 v1, s16
	s_sub_i32 s24, 0, s16
	v_rcp_iflag_f32_e32 v1, v1
	v_mul_f32_e32 v1, 0x4f7ffffe, v1
	v_cvt_u32_f32_e32 v1, v1
	v_mul_lo_u32 v7, s24, v1
	v_mul_hi_u32 v7, v1, v7
	v_add_u32_e32 v1, v1, v7
	v_mul_hi_u32 v1, v3, v1
	v_mul_lo_u32 v7, v1, s16
	v_add_u32_e32 v8, 1, v1
	v_sub_u32_e32 v7, v3, v7
	v_subrev_u32_e32 v9, s16, v7
	v_cmp_le_u32_e32 vcc, s16, v7
	v_cndmask_b32_e32 v7, v7, v9, vcc
	v_cndmask_b32_e32 v1, v1, v8, vcc
	v_add_u32_e32 v8, 1, v1
	v_cmp_le_u32_e32 vcc, s16, v7
	v_cndmask_b32_e32 v7, v1, v8, vcc
	v_mov_b32_e32 v8, 0
.LBB4_72:
	s_or_b64 exec, exec, s[2:3]
	v_mul_lo_u32 v1, v6, s16
	v_mul_lo_u32 v12, v5, s17
	v_mad_u64_u32 v[9:10], s[2:3], v5, s16, 0
	v_add3_u32 v10, v10, v12, v1
	v_cmp_gt_i64_e32 vcc, v[9:10], v[3:4]
	v_mov_b32_e32 v1, s15
	v_add_co_u32_e64 v9, s[2:3], s14, v9
	v_addc_co_u32_e64 v10, s[2:3], v10, v1, s[2:3]
	v_cmp_ge_i64_e64 s[2:3], v[3:4], v[9:10]
	s_or_b64 s[2:3], vcc, s[2:3]
	v_cndmask_b32_e64 v1, 0, 1, s[2:3]
	v_add_co_u32_e32 v9, vcc, v5, v1
	v_addc_co_u32_e32 v10, vcc, 0, v6, vcc
	v_cmp_gt_i64_e32 vcc, s[4:5], v[7:8]
	v_mov_b32_e32 v1, s5
	v_cndmask_b32_e32 v6, v1, v8, vcc
	v_mov_b32_e32 v1, s4
	v_cndmask_b32_e32 v5, v1, v7, vcc
	v_cmp_le_i64_e32 vcc, v[9:10], v[5:6]
	s_and_saveexec_b64 s[42:43], vcc
	s_cbranch_execz .LBB4_75
; %bb.73:
	global_load_ushort v12, v2, s[8:9]
	v_mul_lo_u32 v14, s17, v9
	v_mul_lo_u32 v15, s16, v10
	v_mad_u64_u32 v[7:8], s[2:3], s16, v9, 0
	v_mov_b32_e32 v13, s9
	v_add_co_u32_e32 v1, vcc, s8, v2
	v_addc_co_u32_e32 v2, vcc, 0, v13, vcc
	v_add3_u32 v8, v8, v15, v14
	v_sub_co_u32_e32 v3, vcc, v3, v7
	v_subb_co_u32_e32 v4, vcc, v4, v8, vcc
	v_mul_lo_u32 v15, s23, v3
	v_mul_lo_u32 v16, s22, v4
	v_mad_u64_u32 v[7:8], s[2:3], s22, v3, 0
	v_mul_lo_u32 v17, s21, v9
	v_mul_lo_u32 v18, s20, v10
	v_mad_u64_u32 v[13:14], s[2:3], s20, v9, 0
	v_add_co_u32_e32 v3, vcc, -1, v9
	v_add3_u32 v8, v8, v16, v15
	v_add3_u32 v14, v14, v18, v17
	v_addc_co_u32_e32 v4, vcc, -1, v10, vcc
	v_lshlrev_b64 v[7:8], 1, v[7:8]
	v_lshlrev_b64 v[9:10], 1, v[13:14]
	s_mul_i32 s24, s16, s23
	v_add_co_u32_e32 v7, vcc, v7, v9
	s_mul_hi_u32 s44, s16, s22
	v_addc_co_u32_e32 v8, vcc, v8, v10, vcc
	s_add_i32 s24, s44, s24
	s_mul_i32 s44, s17, s22
	v_add_co_u32_e32 v0, vcc, v7, v0
	s_add_i32 s45, s24, s44
	s_mul_i32 s44, s16, s22
	v_addc_co_u32_e32 v8, vcc, 0, v8, vcc
	s_lshl_b64 s[2:3], s[20:21], 1
	s_lshl_b64 s[44:45], s[44:45], 1
	v_mov_b32_e32 v9, s11
	v_add_co_u32_e32 v7, vcc, s10, v0
	s_sub_u32 s24, s2, s44
	v_addc_co_u32_e32 v8, vcc, v9, v8, vcc
	s_subb_u32 s46, s3, s45
	s_mov_b64 s[44:45], 0
.LBB4_74:                               ; =>This Inner Loop Header: Depth=1
	global_load_ushort v0, v[7:8], off
	v_add_co_u32_e32 v3, vcc, 1, v3
	v_addc_co_u32_e32 v4, vcc, 0, v4, vcc
	v_cmp_ge_i64_e64 s[2:3], v[3:4], v[5:6]
	v_mov_b32_e32 v9, s46
	v_add_co_u32_e32 v7, vcc, s24, v7
	v_addc_co_u32_e32 v8, vcc, v8, v9, vcc
	s_or_b64 s[44:45], s[2:3], s[44:45]
	s_waitcnt vmcnt(0)
	v_add_u16_e32 v12, v0, v12
	global_store_short v[1:2], v12, off
	s_andn2_b64 exec, exec, s[44:45]
	s_cbranch_execnz .LBB4_74
.LBB4_75:
	s_or_b64 exec, exec, s[42:43]
	v_add_u32_e32 v11, 0x100, v11
	s_or_b64 exec, exec, s[18:19]
	v_cmp_gt_i32_e32 vcc, s51, v11
	s_and_saveexec_b64 s[2:3], vcc
	s_cbranch_execz .LBB4_99
.LBB4_76:
	s_and_b64 vcc, exec, s[0:1]
	s_cbranch_vccnz .LBB4_83
; %bb.77:
	v_mov_b32_e32 v2, 0
	s_andn2_b64 vcc, exec, s[40:41]
	v_mov_b32_e32 v0, 0
	v_mov_b32_e32 v4, 0
	s_cbranch_vccnz .LBB4_82
; %bb.78:
	s_add_i32 s0, s31, 1
	s_and_b32 s2, s0, 30
	s_add_u32 s0, s33, 0xffffffe8
	s_addc_u32 s1, s50, -1
	v_mov_b32_e32 v4, 0
	v_mov_b32_e32 v0, 0
	;; [unrolled: 1-line block ×4, first 2 shown]
.LBB4_79:                               ; =>This Inner Loop Header: Depth=1
	s_load_dwordx4 s[40:43], s[0:1], 0x1c
	s_load_dwordx2 s[18:19], s[0:1], 0x2c
	s_load_dwordx2 s[48:49], s[0:1], 0xec
	s_load_dwordx4 s[44:47], s[0:1], 0xdc
	s_add_u32 s0, s0, 24
	s_waitcnt lgkmcnt(0)
	v_mul_hi_u32 v3, s41, v1
	s_addc_u32 s1, s1, 0
	s_add_i32 s2, s2, -2
	s_cmp_eq_u32 s2, 0
	v_add_u32_e32 v3, v1, v3
	v_lshrrev_b32_e32 v3, s42, v3
	v_mul_lo_u32 v5, v3, s40
	v_mul_hi_u32 v6, s18, v3
	v_sub_u32_e32 v5, v1, v5
	v_add_u32_e32 v1, v3, v6
	v_lshrrev_b32_e32 v1, s19, v1
	v_mul_lo_u32 v8, v1, s43
	v_mul_lo_u32 v6, v5, s44
	;; [unrolled: 1-line block ×4, first 2 shown]
	v_sub_u32_e32 v3, v3, v8
	v_mul_lo_u32 v8, v3, s47
	v_mul_lo_u32 v9, v3, s48
	;; [unrolled: 1-line block ×3, first 2 shown]
	v_add3_u32 v2, v6, v2, v8
	v_add3_u32 v0, v7, v0, v9
	;; [unrolled: 1-line block ×3, first 2 shown]
	s_cbranch_scc0 .LBB4_79
; %bb.80:
	s_bitcmp1_b32 s31, 0
	s_cselect_b64 s[2:3], -1, 0
	s_and_b64 vcc, exec, s[2:3]
	s_cbranch_vccnz .LBB4_82
; %bb.81:
	s_load_dwordx2 s[2:3], s[0:1], 0x1c
	s_load_dword s24, s[0:1], 0x24
	s_load_dwordx2 s[18:19], s[0:1], 0xdc
	s_waitcnt lgkmcnt(0)
	v_mul_hi_u32 v3, s3, v1
	v_add_u32_e32 v3, v1, v3
	v_lshrrev_b32_e32 v3, s24, v3
	v_mul_lo_u32 v3, v3, s2
	s_load_dword s2, s[0:1], 0xe4
	v_sub_u32_e32 v5, v1, v3
	v_mad_u64_u32 v[2:3], s[0:1], v5, s18, v[2:3]
	v_mad_u64_u32 v[0:1], s[0:1], v5, s19, v[0:1]
	s_waitcnt lgkmcnt(0)
	v_mad_u64_u32 v[4:5], s[0:1], v5, s2, v[4:5]
.LBB4_82:
	s_cbranch_execz .LBB4_84
	s_branch .LBB4_86
.LBB4_83:
                                        ; implicit-def: $vgpr2
                                        ; implicit-def: $vgpr0
                                        ; implicit-def: $vgpr4
.LBB4_84:
	v_mul_hi_u32 v0, s26, v11
	s_andn2_b64 vcc, exec, s[34:35]
	v_add_u32_e32 v0, v11, v0
	v_lshrrev_b32_e32 v1, s27, v0
	v_mul_lo_u32 v0, v1, s25
	v_sub_u32_e32 v3, v11, v0
	v_mul_lo_u32 v2, v3, s36
	v_mul_lo_u32 v0, v3, s37
	;; [unrolled: 1-line block ×3, first 2 shown]
	s_cbranch_vccnz .LBB4_86
; %bb.85:
	v_mul_hi_u32 v3, s29, v1
	v_add_u32_e32 v3, v1, v3
	v_lshrrev_b32_e32 v3, s30, v3
	v_mul_lo_u32 v3, v3, s28
	v_sub_u32_e32 v5, v1, v3
	v_mad_u64_u32 v[2:3], s[0:1], v5, s39, v[2:3]
	v_mad_u64_u32 v[0:1], s[0:1], v5, s6, v[0:1]
	;; [unrolled: 1-line block ×3, first 2 shown]
.LBB4_86:
	global_load_dwordx2 v[3:4], v4, s[12:13]
	v_mov_b32_e32 v5, 0
	v_mov_b32_e32 v6, 0
	s_waitcnt vmcnt(0)
	v_cmp_lt_i64_e32 vcc, s[14:15], v[3:4]
	s_and_saveexec_b64 s[2:3], vcc
	s_cbranch_execz .LBB4_92
; %bb.87:
	v_mov_b32_e32 v5, s15
	v_subrev_co_u32_e32 v1, vcc, s14, v3
	v_subb_co_u32_e32 v7, vcc, v4, v5, vcc
	v_or_b32_e32 v6, s17, v7
	v_mov_b32_e32 v5, 0
	v_cmp_ne_u64_e32 vcc, 0, v[5:6]
                                        ; implicit-def: $vgpr5_vgpr6
	s_and_saveexec_b64 s[0:1], vcc
	s_xor_b64 s[6:7], exec, s[0:1]
	s_cbranch_execz .LBB4_89
; %bb.88:
	s_ashr_i32 s12, s17, 31
	s_add_u32 s0, s16, s12
	s_mov_b32 s13, s12
	s_addc_u32 s1, s17, s12
	s_xor_b64 s[18:19], s[0:1], s[12:13]
	v_cvt_f32_u32_e32 v5, s18
	v_cvt_f32_u32_e32 v6, s19
	s_sub_u32 s13, 0, s18
	s_subb_u32 s24, 0, s19
	v_ashrrev_i32_e32 v9, 31, v7
	v_madmk_f32 v5, v6, 0x4f800000, v5
	v_rcp_f32_e32 v5, v5
	v_add_co_u32_e32 v1, vcc, v1, v9
	v_xor_b32_e32 v1, v1, v9
	v_mul_f32_e32 v5, 0x5f7ffffc, v5
	v_mul_f32_e32 v6, 0x2f800000, v5
	v_trunc_f32_e32 v6, v6
	v_madmk_f32 v5, v6, 0xcf800000, v5
	v_cvt_u32_f32_e32 v6, v6
	v_cvt_u32_f32_e32 v5, v5
	v_addc_co_u32_e32 v7, vcc, v7, v9, vcc
	v_readfirstlane_b32 s25, v6
	v_readfirstlane_b32 s0, v5
	s_mul_i32 s1, s13, s25
	s_mul_hi_u32 s27, s13, s0
	s_mul_i32 s26, s24, s0
	s_add_i32 s1, s27, s1
	s_add_i32 s1, s1, s26
	s_mul_i32 s28, s13, s0
	s_mul_i32 s27, s0, s1
	s_mul_hi_u32 s29, s0, s28
	s_mul_hi_u32 s26, s0, s1
	s_add_u32 s27, s29, s27
	s_addc_u32 s26, 0, s26
	s_mul_hi_u32 s30, s25, s28
	s_mul_i32 s28, s25, s28
	s_add_u32 s27, s27, s28
	s_mul_hi_u32 s29, s25, s1
	s_addc_u32 s26, s26, s30
	s_addc_u32 s27, s29, 0
	s_mul_i32 s1, s25, s1
	s_add_u32 s1, s26, s1
	s_addc_u32 s26, 0, s27
	s_add_u32 s27, s0, s1
	s_cselect_b64 s[0:1], -1, 0
	s_cmp_lg_u64 s[0:1], 0
	s_addc_u32 s25, s25, s26
	s_mul_i32 s0, s13, s25
	s_mul_hi_u32 s1, s13, s27
	s_add_i32 s0, s1, s0
	s_mul_i32 s24, s24, s27
	s_add_i32 s0, s0, s24
	s_mul_i32 s13, s13, s27
	s_mul_hi_u32 s24, s25, s13
	s_mul_i32 s26, s25, s13
	s_mul_i32 s29, s27, s0
	s_mul_hi_u32 s13, s27, s13
	s_mul_hi_u32 s28, s27, s0
	s_add_u32 s13, s13, s29
	s_addc_u32 s28, 0, s28
	s_add_u32 s13, s13, s26
	s_mul_hi_u32 s1, s25, s0
	s_addc_u32 s13, s28, s24
	s_addc_u32 s1, s1, 0
	s_mul_i32 s0, s25, s0
	s_add_u32 s0, s13, s0
	s_addc_u32 s13, 0, s1
	s_add_u32 s24, s27, s0
	s_cselect_b64 s[0:1], -1, 0
	s_cmp_lg_u64 s[0:1], 0
	s_addc_u32 s13, s25, s13
	v_mad_u64_u32 v[5:6], s[0:1], v1, s13, 0
	v_mul_hi_u32 v8, v1, s24
	v_xor_b32_e32 v10, v7, v9
	v_add_co_u32_e32 v11, vcc, v8, v5
	v_addc_co_u32_e32 v12, vcc, 0, v6, vcc
	v_mad_u64_u32 v[5:6], s[0:1], v10, s24, 0
	v_mad_u64_u32 v[7:8], s[0:1], v10, s13, 0
	v_add_co_u32_e32 v5, vcc, v11, v5
	v_addc_co_u32_e32 v5, vcc, v12, v6, vcc
	v_addc_co_u32_e32 v6, vcc, 0, v8, vcc
	v_add_co_u32_e32 v7, vcc, v5, v7
	v_addc_co_u32_e32 v8, vcc, 0, v6, vcc
	v_mul_lo_u32 v11, s19, v7
	v_mul_lo_u32 v12, s18, v8
	v_mad_u64_u32 v[5:6], s[0:1], s18, v7, 0
	v_add3_u32 v6, v6, v12, v11
	v_sub_u32_e32 v11, v10, v6
	v_mov_b32_e32 v12, s19
	v_sub_co_u32_e32 v1, vcc, v1, v5
	v_subb_co_u32_e64 v5, s[0:1], v11, v12, vcc
	v_subrev_co_u32_e64 v11, s[0:1], s18, v1
	v_subbrev_co_u32_e64 v5, s[0:1], 0, v5, s[0:1]
	v_cmp_le_u32_e64 s[0:1], s19, v5
	v_cndmask_b32_e64 v12, 0, -1, s[0:1]
	v_cmp_le_u32_e64 s[0:1], s18, v11
	v_cndmask_b32_e64 v11, 0, -1, s[0:1]
	v_cmp_eq_u32_e64 s[0:1], s19, v5
	v_cndmask_b32_e64 v5, v12, v11, s[0:1]
	v_add_co_u32_e64 v11, s[0:1], 2, v7
	v_subb_co_u32_e32 v6, vcc, v10, v6, vcc
	v_addc_co_u32_e64 v12, s[0:1], 0, v8, s[0:1]
	v_cmp_le_u32_e32 vcc, s19, v6
	v_add_co_u32_e64 v13, s[0:1], 1, v7
	v_cndmask_b32_e64 v10, 0, -1, vcc
	v_cmp_le_u32_e32 vcc, s18, v1
	v_addc_co_u32_e64 v14, s[0:1], 0, v8, s[0:1]
	v_cndmask_b32_e64 v1, 0, -1, vcc
	v_cmp_eq_u32_e32 vcc, s19, v6
	v_cmp_ne_u32_e64 s[0:1], 0, v5
	v_cndmask_b32_e32 v1, v10, v1, vcc
	v_cndmask_b32_e64 v5, v14, v12, s[0:1]
	v_cmp_ne_u32_e32 vcc, 0, v1
	v_cndmask_b32_e32 v1, v8, v5, vcc
	v_cndmask_b32_e64 v5, v13, v11, s[0:1]
	v_cndmask_b32_e32 v5, v7, v5, vcc
	v_xor_b32_e32 v6, s12, v9
	v_xor_b32_e32 v5, v5, v6
	v_xor_b32_e32 v1, v1, v6
	v_sub_co_u32_e32 v5, vcc, v5, v6
	v_subb_co_u32_e32 v6, vcc, v1, v6, vcc
                                        ; implicit-def: $vgpr1
.LBB4_89:
	s_andn2_saveexec_b64 s[0:1], s[6:7]
	s_cbranch_execz .LBB4_91
; %bb.90:
	v_cvt_f32_u32_e32 v5, s16
	s_sub_i32 s6, 0, s16
	v_rcp_iflag_f32_e32 v5, v5
	v_mul_f32_e32 v5, 0x4f7ffffe, v5
	v_cvt_u32_f32_e32 v5, v5
	v_mul_lo_u32 v6, s6, v5
	v_mul_hi_u32 v6, v5, v6
	v_add_u32_e32 v5, v5, v6
	v_mul_hi_u32 v5, v1, v5
	v_mul_lo_u32 v6, v5, s16
	v_add_u32_e32 v7, 1, v5
	v_sub_u32_e32 v1, v1, v6
	v_subrev_u32_e32 v6, s16, v1
	v_cmp_le_u32_e32 vcc, s16, v1
	v_cndmask_b32_e32 v1, v1, v6, vcc
	v_cndmask_b32_e32 v5, v5, v7, vcc
	v_add_u32_e32 v6, 1, v5
	v_cmp_le_u32_e32 vcc, s16, v1
	v_cndmask_b32_e32 v5, v5, v6, vcc
	v_mov_b32_e32 v6, 0
.LBB4_91:
	s_or_b64 exec, exec, s[0:1]
.LBB4_92:
	s_or_b64 exec, exec, s[2:3]
	v_or_b32_e32 v8, s17, v4
	v_mov_b32_e32 v7, 0
	v_cmp_ne_u64_e32 vcc, 0, v[7:8]
                                        ; implicit-def: $vgpr7_vgpr8
	s_and_saveexec_b64 s[0:1], vcc
	s_xor_b64 s[2:3], exec, s[0:1]
	s_cbranch_execz .LBB4_94
; %bb.93:
	s_ashr_i32 s6, s17, 31
	s_add_u32 s0, s16, s6
	s_mov_b32 s7, s6
	s_addc_u32 s1, s17, s6
	s_xor_b64 s[12:13], s[0:1], s[6:7]
	v_cvt_f32_u32_e32 v1, s12
	v_cvt_f32_u32_e32 v7, s13
	s_sub_u32 s7, 0, s12
	s_subb_u32 s18, 0, s13
	v_madmk_f32 v1, v7, 0x4f800000, v1
	v_rcp_f32_e32 v1, v1
	v_mul_f32_e32 v1, 0x5f7ffffc, v1
	v_mul_f32_e32 v7, 0x2f800000, v1
	v_trunc_f32_e32 v7, v7
	v_madmk_f32 v1, v7, 0xcf800000, v1
	v_cvt_u32_f32_e32 v7, v7
	v_cvt_u32_f32_e32 v1, v1
	v_readfirstlane_b32 s19, v7
	v_readfirstlane_b32 s0, v1
	s_mul_i32 s1, s7, s19
	s_mul_hi_u32 s25, s7, s0
	s_mul_i32 s24, s18, s0
	s_add_i32 s1, s25, s1
	s_add_i32 s1, s1, s24
	s_mul_i32 s26, s7, s0
	s_mul_i32 s25, s0, s1
	s_mul_hi_u32 s27, s0, s26
	s_mul_hi_u32 s24, s0, s1
	s_add_u32 s25, s27, s25
	s_addc_u32 s24, 0, s24
	s_mul_hi_u32 s28, s19, s26
	s_mul_i32 s26, s19, s26
	s_add_u32 s25, s25, s26
	s_mul_hi_u32 s27, s19, s1
	s_addc_u32 s24, s24, s28
	s_addc_u32 s25, s27, 0
	s_mul_i32 s1, s19, s1
	s_add_u32 s1, s24, s1
	s_addc_u32 s24, 0, s25
	s_add_u32 s25, s0, s1
	s_cselect_b64 s[0:1], -1, 0
	s_cmp_lg_u64 s[0:1], 0
	s_addc_u32 s19, s19, s24
	s_mul_i32 s0, s7, s19
	s_mul_hi_u32 s1, s7, s25
	s_add_i32 s0, s1, s0
	s_mul_i32 s18, s18, s25
	s_add_i32 s0, s0, s18
	s_mul_i32 s7, s7, s25
	s_mul_hi_u32 s18, s19, s7
	s_mul_i32 s24, s19, s7
	s_mul_i32 s27, s25, s0
	s_mul_hi_u32 s7, s25, s7
	s_mul_hi_u32 s26, s25, s0
	s_add_u32 s7, s7, s27
	s_addc_u32 s26, 0, s26
	s_add_u32 s7, s7, s24
	s_mul_hi_u32 s1, s19, s0
	s_addc_u32 s7, s26, s18
	s_addc_u32 s1, s1, 0
	s_mul_i32 s0, s19, s0
	s_add_u32 s0, s7, s0
	s_addc_u32 s7, 0, s1
	s_add_u32 s18, s25, s0
	s_cselect_b64 s[0:1], -1, 0
	v_ashrrev_i32_e32 v1, 31, v4
	s_cmp_lg_u64 s[0:1], 0
	v_add_co_u32_e32 v7, vcc, v3, v1
	s_addc_u32 s7, s19, s7
	v_xor_b32_e32 v11, v7, v1
	v_mad_u64_u32 v[7:8], s[0:1], v11, s7, 0
	v_mul_hi_u32 v10, v11, s18
	v_addc_co_u32_e32 v9, vcc, v4, v1, vcc
	v_xor_b32_e32 v12, v9, v1
	v_add_co_u32_e32 v13, vcc, v10, v7
	v_addc_co_u32_e32 v14, vcc, 0, v8, vcc
	v_mad_u64_u32 v[7:8], s[0:1], v12, s18, 0
	v_mad_u64_u32 v[9:10], s[0:1], v12, s7, 0
	v_add_co_u32_e32 v7, vcc, v13, v7
	v_addc_co_u32_e32 v7, vcc, v14, v8, vcc
	v_addc_co_u32_e32 v8, vcc, 0, v10, vcc
	v_add_co_u32_e32 v9, vcc, v7, v9
	v_addc_co_u32_e32 v10, vcc, 0, v8, vcc
	v_mul_lo_u32 v13, s13, v9
	v_mul_lo_u32 v14, s12, v10
	v_mad_u64_u32 v[7:8], s[0:1], s12, v9, 0
	v_xor_b32_e32 v1, s6, v1
	v_add3_u32 v8, v8, v14, v13
	v_sub_u32_e32 v13, v12, v8
	v_mov_b32_e32 v14, s13
	v_sub_co_u32_e32 v7, vcc, v11, v7
	v_subb_co_u32_e64 v11, s[0:1], v13, v14, vcc
	v_subrev_co_u32_e64 v13, s[0:1], s12, v7
	v_subbrev_co_u32_e64 v11, s[0:1], 0, v11, s[0:1]
	v_cmp_le_u32_e64 s[0:1], s13, v11
	v_cndmask_b32_e64 v14, 0, -1, s[0:1]
	v_cmp_le_u32_e64 s[0:1], s12, v13
	v_cndmask_b32_e64 v13, 0, -1, s[0:1]
	v_cmp_eq_u32_e64 s[0:1], s13, v11
	v_cndmask_b32_e64 v11, v14, v13, s[0:1]
	v_add_co_u32_e64 v13, s[0:1], 2, v9
	v_subb_co_u32_e32 v8, vcc, v12, v8, vcc
	v_addc_co_u32_e64 v14, s[0:1], 0, v10, s[0:1]
	v_cmp_le_u32_e32 vcc, s13, v8
	v_add_co_u32_e64 v15, s[0:1], 1, v9
	v_cndmask_b32_e64 v12, 0, -1, vcc
	v_cmp_le_u32_e32 vcc, s12, v7
	v_addc_co_u32_e64 v16, s[0:1], 0, v10, s[0:1]
	v_cndmask_b32_e64 v7, 0, -1, vcc
	v_cmp_eq_u32_e32 vcc, s13, v8
	v_cmp_ne_u32_e64 s[0:1], 0, v11
	v_cndmask_b32_e32 v7, v12, v7, vcc
	v_cndmask_b32_e64 v11, v16, v14, s[0:1]
	v_cmp_ne_u32_e32 vcc, 0, v7
	v_cndmask_b32_e64 v8, v15, v13, s[0:1]
	v_cndmask_b32_e32 v7, v10, v11, vcc
	v_cndmask_b32_e32 v8, v9, v8, vcc
	v_xor_b32_e32 v9, v7, v1
	v_xor_b32_e32 v7, v8, v1
	v_sub_co_u32_e32 v7, vcc, v7, v1
	v_subb_co_u32_e32 v8, vcc, v9, v1, vcc
.LBB4_94:
	s_andn2_saveexec_b64 s[0:1], s[2:3]
	s_cbranch_execz .LBB4_96
; %bb.95:
	v_cvt_f32_u32_e32 v1, s16
	s_sub_i32 s2, 0, s16
	v_rcp_iflag_f32_e32 v1, v1
	v_mul_f32_e32 v1, 0x4f7ffffe, v1
	v_cvt_u32_f32_e32 v1, v1
	v_mul_lo_u32 v7, s2, v1
	v_mul_hi_u32 v7, v1, v7
	v_add_u32_e32 v1, v1, v7
	v_mul_hi_u32 v1, v3, v1
	v_mul_lo_u32 v7, v1, s16
	v_add_u32_e32 v8, 1, v1
	v_sub_u32_e32 v7, v3, v7
	v_subrev_u32_e32 v9, s16, v7
	v_cmp_le_u32_e32 vcc, s16, v7
	v_cndmask_b32_e32 v7, v7, v9, vcc
	v_cndmask_b32_e32 v1, v1, v8, vcc
	v_add_u32_e32 v8, 1, v1
	v_cmp_le_u32_e32 vcc, s16, v7
	v_cndmask_b32_e32 v7, v1, v8, vcc
	v_mov_b32_e32 v8, 0
.LBB4_96:
	s_or_b64 exec, exec, s[0:1]
	v_mul_lo_u32 v1, v6, s16
	v_mul_lo_u32 v11, v5, s17
	v_mad_u64_u32 v[9:10], s[0:1], v5, s16, 0
	v_add3_u32 v10, v10, v11, v1
	v_cmp_gt_i64_e32 vcc, v[9:10], v[3:4]
	v_mov_b32_e32 v1, s15
	v_add_co_u32_e64 v9, s[0:1], s14, v9
	v_addc_co_u32_e64 v10, s[0:1], v10, v1, s[0:1]
	v_cmp_ge_i64_e64 s[0:1], v[3:4], v[9:10]
	s_or_b64 s[0:1], vcc, s[0:1]
	v_cndmask_b32_e64 v1, 0, 1, s[0:1]
	v_add_co_u32_e32 v9, vcc, v5, v1
	v_addc_co_u32_e32 v10, vcc, 0, v6, vcc
	v_cmp_gt_i64_e32 vcc, s[4:5], v[7:8]
	v_mov_b32_e32 v1, s5
	v_cndmask_b32_e32 v6, v1, v8, vcc
	v_mov_b32_e32 v1, s4
	v_cndmask_b32_e32 v5, v1, v7, vcc
	v_cmp_le_i64_e32 vcc, v[9:10], v[5:6]
	s_and_b64 exec, exec, vcc
	s_cbranch_execz .LBB4_99
; %bb.97:
	global_load_ushort v11, v2, s[8:9]
	v_mul_lo_u32 v13, s17, v9
	v_mul_lo_u32 v14, s16, v10
	v_mad_u64_u32 v[7:8], s[0:1], s16, v9, 0
	v_mov_b32_e32 v12, s9
	v_add_co_u32_e32 v1, vcc, s8, v2
	v_addc_co_u32_e32 v2, vcc, 0, v12, vcc
	v_add3_u32 v8, v8, v14, v13
	v_sub_co_u32_e32 v3, vcc, v3, v7
	v_subb_co_u32_e32 v4, vcc, v4, v8, vcc
	v_mul_lo_u32 v14, s23, v3
	v_mul_lo_u32 v15, s22, v4
	v_mad_u64_u32 v[7:8], s[0:1], s22, v3, 0
	v_mul_lo_u32 v16, s21, v9
	v_mul_lo_u32 v17, s20, v10
	v_mad_u64_u32 v[12:13], s[0:1], s20, v9, 0
	v_add_co_u32_e32 v3, vcc, -1, v9
	v_add3_u32 v8, v8, v15, v14
	v_add3_u32 v13, v13, v17, v16
	v_addc_co_u32_e32 v4, vcc, -1, v10, vcc
	v_lshlrev_b64 v[7:8], 1, v[7:8]
	v_lshlrev_b64 v[9:10], 1, v[12:13]
	s_mul_i32 s2, s16, s23
	v_add_co_u32_e32 v7, vcc, v7, v9
	s_mul_hi_u32 s3, s16, s22
	v_addc_co_u32_e32 v8, vcc, v8, v10, vcc
	s_add_i32 s2, s3, s2
	s_mul_i32 s3, s17, s22
	v_add_co_u32_e32 v0, vcc, v7, v0
	s_add_i32 s3, s2, s3
	s_mul_i32 s2, s16, s22
	v_addc_co_u32_e32 v8, vcc, 0, v8, vcc
	s_lshl_b64 s[0:1], s[20:21], 1
	s_lshl_b64 s[2:3], s[2:3], 1
	v_mov_b32_e32 v9, s11
	v_add_co_u32_e32 v7, vcc, s10, v0
	s_sub_u32 s4, s0, s2
	v_addc_co_u32_e32 v8, vcc, v9, v8, vcc
	s_subb_u32 s5, s1, s3
	s_mov_b64 s[2:3], 0
.LBB4_98:                               ; =>This Inner Loop Header: Depth=1
	global_load_ushort v0, v[7:8], off
	v_add_co_u32_e32 v3, vcc, 1, v3
	v_addc_co_u32_e32 v4, vcc, 0, v4, vcc
	v_cmp_ge_i64_e64 s[0:1], v[3:4], v[5:6]
	v_mov_b32_e32 v9, s5
	v_add_co_u32_e32 v7, vcc, s4, v7
	v_addc_co_u32_e32 v8, vcc, v8, v9, vcc
	s_or_b64 s[2:3], s[0:1], s[2:3]
	s_waitcnt vmcnt(0)
	v_add_u16_e32 v11, v0, v11
	global_store_short v[1:2], v11, off
	s_andn2_b64 exec, exec, s[2:3]
	s_cbranch_execnz .LBB4_98
.LBB4_99:
	s_endpgm
	.section	.rodata,"a",@progbits
	.p2align	6, 0x0
	.amdhsa_kernel _ZN2at6native12_GLOBAL__N_135_unfold_backward_elementwise_kernelILi256ELi4EZNS1_32_unfold_backward_internal_kernelIsEEvRNS_14TensorIteratorEllllllEUliE_EEviT1_
		.amdhsa_group_segment_fixed_size 0
		.amdhsa_private_segment_fixed_size 0
		.amdhsa_kernarg_size 464
		.amdhsa_user_sgpr_count 6
		.amdhsa_user_sgpr_private_segment_buffer 1
		.amdhsa_user_sgpr_dispatch_ptr 0
		.amdhsa_user_sgpr_queue_ptr 0
		.amdhsa_user_sgpr_kernarg_segment_ptr 1
		.amdhsa_user_sgpr_dispatch_id 0
		.amdhsa_user_sgpr_flat_scratch_init 0
		.amdhsa_user_sgpr_private_segment_size 0
		.amdhsa_uses_dynamic_stack 0
		.amdhsa_system_sgpr_private_segment_wavefront_offset 0
		.amdhsa_system_sgpr_workgroup_id_x 1
		.amdhsa_system_sgpr_workgroup_id_y 0
		.amdhsa_system_sgpr_workgroup_id_z 0
		.amdhsa_system_sgpr_workgroup_info 0
		.amdhsa_system_vgpr_workitem_id 0
		.amdhsa_next_free_vgpr 19
		.amdhsa_next_free_sgpr 58
		.amdhsa_reserve_vcc 1
		.amdhsa_reserve_flat_scratch 0
		.amdhsa_float_round_mode_32 0
		.amdhsa_float_round_mode_16_64 0
		.amdhsa_float_denorm_mode_32 3
		.amdhsa_float_denorm_mode_16_64 3
		.amdhsa_dx10_clamp 1
		.amdhsa_ieee_mode 1
		.amdhsa_fp16_overflow 0
		.amdhsa_exception_fp_ieee_invalid_op 0
		.amdhsa_exception_fp_denorm_src 0
		.amdhsa_exception_fp_ieee_div_zero 0
		.amdhsa_exception_fp_ieee_overflow 0
		.amdhsa_exception_fp_ieee_underflow 0
		.amdhsa_exception_fp_ieee_inexact 0
		.amdhsa_exception_int_div_zero 0
	.end_amdhsa_kernel
	.section	.text._ZN2at6native12_GLOBAL__N_135_unfold_backward_elementwise_kernelILi256ELi4EZNS1_32_unfold_backward_internal_kernelIsEEvRNS_14TensorIteratorEllllllEUliE_EEviT1_,"axG",@progbits,_ZN2at6native12_GLOBAL__N_135_unfold_backward_elementwise_kernelILi256ELi4EZNS1_32_unfold_backward_internal_kernelIsEEvRNS_14TensorIteratorEllllllEUliE_EEviT1_,comdat
.Lfunc_end4:
	.size	_ZN2at6native12_GLOBAL__N_135_unfold_backward_elementwise_kernelILi256ELi4EZNS1_32_unfold_backward_internal_kernelIsEEvRNS_14TensorIteratorEllllllEUliE_EEviT1_, .Lfunc_end4-_ZN2at6native12_GLOBAL__N_135_unfold_backward_elementwise_kernelILi256ELi4EZNS1_32_unfold_backward_internal_kernelIsEEvRNS_14TensorIteratorEllllllEUliE_EEviT1_
                                        ; -- End function
	.set _ZN2at6native12_GLOBAL__N_135_unfold_backward_elementwise_kernelILi256ELi4EZNS1_32_unfold_backward_internal_kernelIsEEvRNS_14TensorIteratorEllllllEUliE_EEviT1_.num_vgpr, 19
	.set _ZN2at6native12_GLOBAL__N_135_unfold_backward_elementwise_kernelILi256ELi4EZNS1_32_unfold_backward_internal_kernelIsEEvRNS_14TensorIteratorEllllllEUliE_EEviT1_.num_agpr, 0
	.set _ZN2at6native12_GLOBAL__N_135_unfold_backward_elementwise_kernelILi256ELi4EZNS1_32_unfold_backward_internal_kernelIsEEvRNS_14TensorIteratorEllllllEUliE_EEviT1_.numbered_sgpr, 58
	.set _ZN2at6native12_GLOBAL__N_135_unfold_backward_elementwise_kernelILi256ELi4EZNS1_32_unfold_backward_internal_kernelIsEEvRNS_14TensorIteratorEllllllEUliE_EEviT1_.num_named_barrier, 0
	.set _ZN2at6native12_GLOBAL__N_135_unfold_backward_elementwise_kernelILi256ELi4EZNS1_32_unfold_backward_internal_kernelIsEEvRNS_14TensorIteratorEllllllEUliE_EEviT1_.private_seg_size, 0
	.set _ZN2at6native12_GLOBAL__N_135_unfold_backward_elementwise_kernelILi256ELi4EZNS1_32_unfold_backward_internal_kernelIsEEvRNS_14TensorIteratorEllllllEUliE_EEviT1_.uses_vcc, 1
	.set _ZN2at6native12_GLOBAL__N_135_unfold_backward_elementwise_kernelILi256ELi4EZNS1_32_unfold_backward_internal_kernelIsEEvRNS_14TensorIteratorEllllllEUliE_EEviT1_.uses_flat_scratch, 0
	.set _ZN2at6native12_GLOBAL__N_135_unfold_backward_elementwise_kernelILi256ELi4EZNS1_32_unfold_backward_internal_kernelIsEEvRNS_14TensorIteratorEllllllEUliE_EEviT1_.has_dyn_sized_stack, 0
	.set _ZN2at6native12_GLOBAL__N_135_unfold_backward_elementwise_kernelILi256ELi4EZNS1_32_unfold_backward_internal_kernelIsEEvRNS_14TensorIteratorEllllllEUliE_EEviT1_.has_recursion, 0
	.set _ZN2at6native12_GLOBAL__N_135_unfold_backward_elementwise_kernelILi256ELi4EZNS1_32_unfold_backward_internal_kernelIsEEvRNS_14TensorIteratorEllllllEUliE_EEviT1_.has_indirect_call, 0
	.section	.AMDGPU.csdata,"",@progbits
; Kernel info:
; codeLenInByte = 9960
; TotalNumSgprs: 62
; NumVgprs: 19
; ScratchSize: 0
; MemoryBound: 0
; FloatMode: 240
; IeeeMode: 1
; LDSByteSize: 0 bytes/workgroup (compile time only)
; SGPRBlocks: 7
; VGPRBlocks: 4
; NumSGPRsForWavesPerEU: 62
; NumVGPRsForWavesPerEU: 19
; Occupancy: 10
; WaveLimiterHint : 1
; COMPUTE_PGM_RSRC2:SCRATCH_EN: 0
; COMPUTE_PGM_RSRC2:USER_SGPR: 6
; COMPUTE_PGM_RSRC2:TRAP_HANDLER: 0
; COMPUTE_PGM_RSRC2:TGID_X_EN: 1
; COMPUTE_PGM_RSRC2:TGID_Y_EN: 0
; COMPUTE_PGM_RSRC2:TGID_Z_EN: 0
; COMPUTE_PGM_RSRC2:TIDIG_COMP_CNT: 0
	.section	.text._ZN2at6native12_GLOBAL__N_135_unfold_backward_elementwise_kernelILi256ELi4EZNS1_32_unfold_backward_internal_kernelIdEEvRNS_14TensorIteratorEllllllEUliE_EEviT1_,"axG",@progbits,_ZN2at6native12_GLOBAL__N_135_unfold_backward_elementwise_kernelILi256ELi4EZNS1_32_unfold_backward_internal_kernelIdEEvRNS_14TensorIteratorEllllllEUliE_EEviT1_,comdat
	.globl	_ZN2at6native12_GLOBAL__N_135_unfold_backward_elementwise_kernelILi256ELi4EZNS1_32_unfold_backward_internal_kernelIdEEvRNS_14TensorIteratorEllllllEUliE_EEviT1_ ; -- Begin function _ZN2at6native12_GLOBAL__N_135_unfold_backward_elementwise_kernelILi256ELi4EZNS1_32_unfold_backward_internal_kernelIdEEvRNS_14TensorIteratorEllllllEUliE_EEviT1_
	.p2align	8
	.type	_ZN2at6native12_GLOBAL__N_135_unfold_backward_elementwise_kernelILi256ELi4EZNS1_32_unfold_backward_internal_kernelIdEEvRNS_14TensorIteratorEllllllEUliE_EEviT1_,@function
_ZN2at6native12_GLOBAL__N_135_unfold_backward_elementwise_kernelILi256ELi4EZNS1_32_unfold_backward_internal_kernelIdEEvRNS_14TensorIteratorEllllllEUliE_EEviT1_: ; @_ZN2at6native12_GLOBAL__N_135_unfold_backward_elementwise_kernelILi256ELi4EZNS1_32_unfold_backward_internal_kernelIdEEvRNS_14TensorIteratorEllllllEUliE_EEviT1_
; %bb.0:
	s_load_dword s51, s[4:5], 0x0
	s_load_dwordx8 s[24:31], s[4:5], 0x8
	s_add_u32 s33, s4, 8
	v_lshl_or_b32 v11, s6, 10, v0
	s_addc_u32 s50, s5, 0
	s_load_dwordx16 s[8:23], s[4:5], 0x190
	s_load_dwordx4 s[36:39], s[4:5], 0xcc
	s_load_dwordx2 s[6:7], s[4:5], 0xdc
	s_waitcnt lgkmcnt(0)
	v_sub_co_u32_e64 v0, s[0:1], s24, 1
	s_xor_b64 s[40:41], s[0:1], -1
	v_readfirstlane_b32 s0, v0
	s_min_u32 s31, s0, 15
	s_cmp_gt_u32 s24, 1
	v_cmp_lt_u32_e64 s[0:1], 1, v0
	s_cselect_b64 s[34:35], -1, 0
	s_add_u32 s4, s18, -1
	v_cndmask_b32_e64 v0, 0, 1, s[0:1]
	s_mov_b64 s[2:3], -1
	s_addc_u32 s5, s19, -1
	v_cmp_gt_i32_e32 vcc, s51, v11
	v_cmp_ne_u32_e64 s[0:1], 1, v0
	s_and_saveexec_b64 s[18:19], vcc
	s_cbranch_execnz .LBB5_4
; %bb.1:
	s_or_b64 exec, exec, s[18:19]
	v_cmp_gt_i32_e32 vcc, s51, v11
	s_and_saveexec_b64 s[18:19], vcc
	s_cbranch_execnz .LBB5_28
.LBB5_2:
	s_or_b64 exec, exec, s[18:19]
	v_cmp_gt_i32_e32 vcc, s51, v11
	s_and_saveexec_b64 s[18:19], vcc
	s_cbranch_execnz .LBB5_52
.LBB5_3:
	s_or_b64 exec, exec, s[18:19]
	v_cmp_gt_i32_e32 vcc, s51, v11
	s_and_saveexec_b64 s[2:3], vcc
	s_cbranch_execnz .LBB5_76
	s_branch .LBB5_99
.LBB5_4:
	s_and_b64 vcc, exec, s[0:1]
                                        ; implicit-def: $vgpr2
                                        ; implicit-def: $vgpr0
                                        ; implicit-def: $vgpr4
	s_cbranch_vccnz .LBB5_11
; %bb.5:
	v_mov_b32_e32 v2, 0
	s_andn2_b64 vcc, exec, s[40:41]
	v_mov_b32_e32 v0, 0
	v_mov_b32_e32 v4, 0
	s_cbranch_vccnz .LBB5_10
; %bb.6:
	s_add_i32 s2, s31, 1
	s_and_b32 s24, s2, 30
	s_add_u32 s2, s33, 0xffffffe8
	s_addc_u32 s3, s50, -1
	v_mov_b32_e32 v4, 0
	v_mov_b32_e32 v0, 0
	;; [unrolled: 1-line block ×4, first 2 shown]
.LBB5_7:                                ; =>This Inner Loop Header: Depth=1
	s_load_dwordx4 s[44:47], s[2:3], 0x1c
	s_load_dwordx2 s[42:43], s[2:3], 0x2c
	s_load_dwordx2 s[48:49], s[2:3], 0xec
	s_load_dwordx4 s[52:55], s[2:3], 0xdc
	s_add_u32 s2, s2, 24
	s_waitcnt lgkmcnt(0)
	v_mul_hi_u32 v3, s45, v1
	s_addc_u32 s3, s3, 0
	s_add_i32 s24, s24, -2
	s_cmp_lg_u32 s24, 0
	v_add_u32_e32 v3, v1, v3
	v_lshrrev_b32_e32 v3, s46, v3
	v_mul_lo_u32 v5, v3, s44
	v_mul_hi_u32 v6, s42, v3
	v_sub_u32_e32 v5, v1, v5
	v_add_u32_e32 v1, v3, v6
	v_lshrrev_b32_e32 v1, s43, v1
	v_mul_lo_u32 v8, v1, s47
	v_mul_lo_u32 v6, v5, s52
	;; [unrolled: 1-line block ×4, first 2 shown]
	v_sub_u32_e32 v3, v3, v8
	v_mul_lo_u32 v8, v3, s55
	v_mul_lo_u32 v9, v3, s48
	v_mul_lo_u32 v3, v3, s49
	v_add3_u32 v2, v6, v2, v8
	v_add3_u32 v0, v7, v0, v9
	;; [unrolled: 1-line block ×3, first 2 shown]
	s_cbranch_scc1 .LBB5_7
; %bb.8:
	s_bitcmp1_b32 s31, 0
	s_cselect_b64 s[42:43], -1, 0
	s_and_b64 vcc, exec, s[42:43]
	s_cbranch_vccnz .LBB5_10
; %bb.9:
	s_load_dwordx2 s[42:43], s[2:3], 0x1c
	s_load_dword s24, s[2:3], 0x24
	s_load_dwordx2 s[44:45], s[2:3], 0xdc
	s_waitcnt lgkmcnt(0)
	v_mul_hi_u32 v3, s43, v1
	v_add_u32_e32 v3, v1, v3
	v_lshrrev_b32_e32 v3, s24, v3
	v_mul_lo_u32 v3, v3, s42
	s_load_dword s24, s[2:3], 0xe4
	v_sub_u32_e32 v5, v1, v3
	v_mad_u64_u32 v[2:3], s[2:3], v5, s44, v[2:3]
	v_mad_u64_u32 v[0:1], s[2:3], v5, s45, v[0:1]
	s_waitcnt lgkmcnt(0)
	v_mad_u64_u32 v[4:5], s[2:3], v5, s24, v[4:5]
.LBB5_10:
	s_mov_b64 s[2:3], 0
.LBB5_11:
	s_andn2_b64 vcc, exec, s[2:3]
	s_cbranch_vccnz .LBB5_14
; %bb.12:
	v_mul_hi_u32 v0, s26, v11
	s_andn2_b64 vcc, exec, s[34:35]
	v_add_u32_e32 v0, v11, v0
	v_lshrrev_b32_e32 v1, s27, v0
	v_mul_lo_u32 v0, v1, s25
	v_sub_u32_e32 v3, v11, v0
	v_mul_lo_u32 v2, v3, s36
	v_mul_lo_u32 v0, v3, s37
	;; [unrolled: 1-line block ×3, first 2 shown]
	s_cbranch_vccnz .LBB5_14
; %bb.13:
	v_mul_hi_u32 v3, s29, v1
	v_add_u32_e32 v3, v1, v3
	v_lshrrev_b32_e32 v3, s30, v3
	v_mul_lo_u32 v3, v3, s28
	v_sub_u32_e32 v5, v1, v3
	v_mad_u64_u32 v[2:3], s[2:3], v5, s39, v[2:3]
	v_mad_u64_u32 v[0:1], s[2:3], v5, s6, v[0:1]
	;; [unrolled: 1-line block ×3, first 2 shown]
.LBB5_14:
	global_load_dwordx2 v[3:4], v4, s[12:13]
	v_mov_b32_e32 v5, 0
	v_mov_b32_e32 v6, 0
	s_waitcnt vmcnt(0)
	v_cmp_lt_i64_e32 vcc, s[14:15], v[3:4]
	s_and_saveexec_b64 s[42:43], vcc
	s_cbranch_execz .LBB5_20
; %bb.15:
	v_mov_b32_e32 v5, s15
	v_subrev_co_u32_e32 v1, vcc, s14, v3
	v_subb_co_u32_e32 v7, vcc, v4, v5, vcc
	v_or_b32_e32 v6, s17, v7
	v_mov_b32_e32 v5, 0
	v_cmp_ne_u64_e32 vcc, 0, v[5:6]
                                        ; implicit-def: $vgpr5_vgpr6
	s_and_saveexec_b64 s[2:3], vcc
	s_xor_b64 s[44:45], exec, s[2:3]
	s_cbranch_execz .LBB5_17
; %bb.16:
	s_ashr_i32 s46, s17, 31
	s_add_u32 s2, s16, s46
	s_mov_b32 s47, s46
	s_addc_u32 s3, s17, s46
	s_xor_b64 s[48:49], s[2:3], s[46:47]
	v_cvt_f32_u32_e32 v5, s48
	v_cvt_f32_u32_e32 v6, s49
	s_sub_u32 s24, 0, s48
	s_subb_u32 s47, 0, s49
	v_ashrrev_i32_e32 v9, 31, v7
	v_madmk_f32 v5, v6, 0x4f800000, v5
	v_rcp_f32_e32 v5, v5
	v_add_co_u32_e32 v1, vcc, v1, v9
	v_xor_b32_e32 v1, v1, v9
	v_mul_f32_e32 v5, 0x5f7ffffc, v5
	v_mul_f32_e32 v6, 0x2f800000, v5
	v_trunc_f32_e32 v6, v6
	v_madmk_f32 v5, v6, 0xcf800000, v5
	v_cvt_u32_f32_e32 v6, v6
	v_cvt_u32_f32_e32 v5, v5
	v_addc_co_u32_e32 v7, vcc, v7, v9, vcc
	v_readfirstlane_b32 s52, v6
	v_readfirstlane_b32 s2, v5
	s_mul_i32 s3, s24, s52
	s_mul_hi_u32 s54, s24, s2
	s_mul_i32 s53, s47, s2
	s_add_i32 s3, s54, s3
	s_add_i32 s3, s3, s53
	s_mul_i32 s55, s24, s2
	s_mul_i32 s54, s2, s3
	s_mul_hi_u32 s56, s2, s55
	s_mul_hi_u32 s53, s2, s3
	s_add_u32 s54, s56, s54
	s_addc_u32 s53, 0, s53
	s_mul_hi_u32 s57, s52, s55
	s_mul_i32 s55, s52, s55
	s_add_u32 s54, s54, s55
	s_mul_hi_u32 s56, s52, s3
	s_addc_u32 s53, s53, s57
	s_addc_u32 s54, s56, 0
	s_mul_i32 s3, s52, s3
	s_add_u32 s3, s53, s3
	s_addc_u32 s53, 0, s54
	s_add_u32 s54, s2, s3
	s_cselect_b64 s[2:3], -1, 0
	s_cmp_lg_u64 s[2:3], 0
	s_addc_u32 s52, s52, s53
	s_mul_i32 s2, s24, s52
	s_mul_hi_u32 s3, s24, s54
	s_add_i32 s2, s3, s2
	s_mul_i32 s47, s47, s54
	s_add_i32 s2, s2, s47
	s_mul_i32 s24, s24, s54
	s_mul_hi_u32 s47, s52, s24
	s_mul_i32 s53, s52, s24
	s_mul_i32 s56, s54, s2
	s_mul_hi_u32 s24, s54, s24
	s_mul_hi_u32 s55, s54, s2
	s_add_u32 s24, s24, s56
	s_addc_u32 s55, 0, s55
	s_add_u32 s24, s24, s53
	s_mul_hi_u32 s3, s52, s2
	s_addc_u32 s24, s55, s47
	s_addc_u32 s3, s3, 0
	s_mul_i32 s2, s52, s2
	s_add_u32 s2, s24, s2
	s_addc_u32 s24, 0, s3
	s_add_u32 s47, s54, s2
	s_cselect_b64 s[2:3], -1, 0
	s_cmp_lg_u64 s[2:3], 0
	s_addc_u32 s24, s52, s24
	v_mad_u64_u32 v[5:6], s[2:3], v1, s24, 0
	v_mul_hi_u32 v8, v1, s47
	v_xor_b32_e32 v10, v7, v9
	v_add_co_u32_e32 v12, vcc, v8, v5
	v_addc_co_u32_e32 v13, vcc, 0, v6, vcc
	v_mad_u64_u32 v[5:6], s[2:3], v10, s47, 0
	v_mad_u64_u32 v[7:8], s[2:3], v10, s24, 0
	v_add_co_u32_e32 v5, vcc, v12, v5
	v_addc_co_u32_e32 v5, vcc, v13, v6, vcc
	v_addc_co_u32_e32 v6, vcc, 0, v8, vcc
	v_add_co_u32_e32 v7, vcc, v5, v7
	v_addc_co_u32_e32 v8, vcc, 0, v6, vcc
	v_mul_lo_u32 v12, s49, v7
	v_mul_lo_u32 v13, s48, v8
	v_mad_u64_u32 v[5:6], s[2:3], s48, v7, 0
	v_add3_u32 v6, v6, v13, v12
	v_sub_u32_e32 v12, v10, v6
	v_mov_b32_e32 v13, s49
	v_sub_co_u32_e32 v1, vcc, v1, v5
	v_subb_co_u32_e64 v5, s[2:3], v12, v13, vcc
	v_subrev_co_u32_e64 v12, s[2:3], s48, v1
	v_subbrev_co_u32_e64 v5, s[2:3], 0, v5, s[2:3]
	v_cmp_le_u32_e64 s[2:3], s49, v5
	v_cndmask_b32_e64 v13, 0, -1, s[2:3]
	v_cmp_le_u32_e64 s[2:3], s48, v12
	v_cndmask_b32_e64 v12, 0, -1, s[2:3]
	v_cmp_eq_u32_e64 s[2:3], s49, v5
	v_cndmask_b32_e64 v5, v13, v12, s[2:3]
	v_add_co_u32_e64 v12, s[2:3], 2, v7
	v_subb_co_u32_e32 v6, vcc, v10, v6, vcc
	v_addc_co_u32_e64 v13, s[2:3], 0, v8, s[2:3]
	v_cmp_le_u32_e32 vcc, s49, v6
	v_add_co_u32_e64 v14, s[2:3], 1, v7
	v_cndmask_b32_e64 v10, 0, -1, vcc
	v_cmp_le_u32_e32 vcc, s48, v1
	v_addc_co_u32_e64 v15, s[2:3], 0, v8, s[2:3]
	v_cndmask_b32_e64 v1, 0, -1, vcc
	v_cmp_eq_u32_e32 vcc, s49, v6
	v_cmp_ne_u32_e64 s[2:3], 0, v5
	v_cndmask_b32_e32 v1, v10, v1, vcc
	v_cndmask_b32_e64 v5, v15, v13, s[2:3]
	v_cmp_ne_u32_e32 vcc, 0, v1
	v_cndmask_b32_e32 v1, v8, v5, vcc
	v_cndmask_b32_e64 v5, v14, v12, s[2:3]
	v_cndmask_b32_e32 v5, v7, v5, vcc
	v_xor_b32_e32 v6, s46, v9
	v_xor_b32_e32 v5, v5, v6
	;; [unrolled: 1-line block ×3, first 2 shown]
	v_sub_co_u32_e32 v5, vcc, v5, v6
	v_subb_co_u32_e32 v6, vcc, v1, v6, vcc
                                        ; implicit-def: $vgpr1
.LBB5_17:
	s_andn2_saveexec_b64 s[2:3], s[44:45]
	s_cbranch_execz .LBB5_19
; %bb.18:
	v_cvt_f32_u32_e32 v5, s16
	s_sub_i32 s24, 0, s16
	v_rcp_iflag_f32_e32 v5, v5
	v_mul_f32_e32 v5, 0x4f7ffffe, v5
	v_cvt_u32_f32_e32 v5, v5
	v_mul_lo_u32 v6, s24, v5
	v_mul_hi_u32 v6, v5, v6
	v_add_u32_e32 v5, v5, v6
	v_mul_hi_u32 v5, v1, v5
	v_mul_lo_u32 v6, v5, s16
	v_add_u32_e32 v7, 1, v5
	v_sub_u32_e32 v1, v1, v6
	v_subrev_u32_e32 v6, s16, v1
	v_cmp_le_u32_e32 vcc, s16, v1
	v_cndmask_b32_e32 v1, v1, v6, vcc
	v_cndmask_b32_e32 v5, v5, v7, vcc
	v_add_u32_e32 v6, 1, v5
	v_cmp_le_u32_e32 vcc, s16, v1
	v_cndmask_b32_e32 v5, v5, v6, vcc
	v_mov_b32_e32 v6, 0
.LBB5_19:
	s_or_b64 exec, exec, s[2:3]
.LBB5_20:
	s_or_b64 exec, exec, s[42:43]
	v_or_b32_e32 v8, s17, v4
	v_mov_b32_e32 v7, 0
	v_cmp_ne_u64_e32 vcc, 0, v[7:8]
                                        ; implicit-def: $vgpr7_vgpr8
	s_and_saveexec_b64 s[2:3], vcc
	s_xor_b64 s[42:43], exec, s[2:3]
	s_cbranch_execz .LBB5_22
; %bb.21:
	s_ashr_i32 s44, s17, 31
	s_add_u32 s2, s16, s44
	s_mov_b32 s45, s44
	s_addc_u32 s3, s17, s44
	s_xor_b64 s[46:47], s[2:3], s[44:45]
	v_cvt_f32_u32_e32 v1, s46
	v_cvt_f32_u32_e32 v7, s47
	s_sub_u32 s24, 0, s46
	s_subb_u32 s45, 0, s47
	v_madmk_f32 v1, v7, 0x4f800000, v1
	v_rcp_f32_e32 v1, v1
	v_mul_f32_e32 v1, 0x5f7ffffc, v1
	v_mul_f32_e32 v7, 0x2f800000, v1
	v_trunc_f32_e32 v7, v7
	v_madmk_f32 v1, v7, 0xcf800000, v1
	v_cvt_u32_f32_e32 v7, v7
	v_cvt_u32_f32_e32 v1, v1
	v_readfirstlane_b32 s48, v7
	v_readfirstlane_b32 s2, v1
	s_mul_i32 s3, s24, s48
	s_mul_hi_u32 s52, s24, s2
	s_mul_i32 s49, s45, s2
	s_add_i32 s3, s52, s3
	s_add_i32 s3, s3, s49
	s_mul_i32 s53, s24, s2
	s_mul_i32 s52, s2, s3
	s_mul_hi_u32 s54, s2, s53
	s_mul_hi_u32 s49, s2, s3
	s_add_u32 s52, s54, s52
	s_addc_u32 s49, 0, s49
	s_mul_hi_u32 s55, s48, s53
	s_mul_i32 s53, s48, s53
	s_add_u32 s52, s52, s53
	s_mul_hi_u32 s54, s48, s3
	s_addc_u32 s49, s49, s55
	s_addc_u32 s52, s54, 0
	s_mul_i32 s3, s48, s3
	s_add_u32 s3, s49, s3
	s_addc_u32 s49, 0, s52
	s_add_u32 s52, s2, s3
	s_cselect_b64 s[2:3], -1, 0
	s_cmp_lg_u64 s[2:3], 0
	s_addc_u32 s48, s48, s49
	s_mul_i32 s2, s24, s48
	s_mul_hi_u32 s3, s24, s52
	s_add_i32 s2, s3, s2
	s_mul_i32 s45, s45, s52
	s_add_i32 s2, s2, s45
	s_mul_i32 s24, s24, s52
	s_mul_hi_u32 s45, s48, s24
	s_mul_i32 s49, s48, s24
	s_mul_i32 s54, s52, s2
	s_mul_hi_u32 s24, s52, s24
	s_mul_hi_u32 s53, s52, s2
	s_add_u32 s24, s24, s54
	s_addc_u32 s53, 0, s53
	s_add_u32 s24, s24, s49
	s_mul_hi_u32 s3, s48, s2
	s_addc_u32 s24, s53, s45
	s_addc_u32 s3, s3, 0
	s_mul_i32 s2, s48, s2
	s_add_u32 s2, s24, s2
	s_addc_u32 s24, 0, s3
	s_add_u32 s45, s52, s2
	s_cselect_b64 s[2:3], -1, 0
	v_ashrrev_i32_e32 v1, 31, v4
	s_cmp_lg_u64 s[2:3], 0
	v_add_co_u32_e32 v7, vcc, v3, v1
	s_addc_u32 s24, s48, s24
	v_xor_b32_e32 v12, v7, v1
	v_mad_u64_u32 v[7:8], s[2:3], v12, s24, 0
	v_mul_hi_u32 v10, v12, s45
	v_addc_co_u32_e32 v9, vcc, v4, v1, vcc
	v_xor_b32_e32 v13, v9, v1
	v_add_co_u32_e32 v14, vcc, v10, v7
	v_addc_co_u32_e32 v15, vcc, 0, v8, vcc
	v_mad_u64_u32 v[7:8], s[2:3], v13, s45, 0
	v_mad_u64_u32 v[9:10], s[2:3], v13, s24, 0
	v_add_co_u32_e32 v7, vcc, v14, v7
	v_addc_co_u32_e32 v7, vcc, v15, v8, vcc
	v_addc_co_u32_e32 v8, vcc, 0, v10, vcc
	v_add_co_u32_e32 v9, vcc, v7, v9
	v_addc_co_u32_e32 v10, vcc, 0, v8, vcc
	v_mul_lo_u32 v14, s47, v9
	v_mul_lo_u32 v15, s46, v10
	v_mad_u64_u32 v[7:8], s[2:3], s46, v9, 0
	v_xor_b32_e32 v1, s44, v1
	v_add3_u32 v8, v8, v15, v14
	v_sub_u32_e32 v14, v13, v8
	v_mov_b32_e32 v15, s47
	v_sub_co_u32_e32 v7, vcc, v12, v7
	v_subb_co_u32_e64 v12, s[2:3], v14, v15, vcc
	v_subrev_co_u32_e64 v14, s[2:3], s46, v7
	v_subbrev_co_u32_e64 v12, s[2:3], 0, v12, s[2:3]
	v_cmp_le_u32_e64 s[2:3], s47, v12
	v_cndmask_b32_e64 v15, 0, -1, s[2:3]
	v_cmp_le_u32_e64 s[2:3], s46, v14
	v_cndmask_b32_e64 v14, 0, -1, s[2:3]
	v_cmp_eq_u32_e64 s[2:3], s47, v12
	v_cndmask_b32_e64 v12, v15, v14, s[2:3]
	v_add_co_u32_e64 v14, s[2:3], 2, v9
	v_subb_co_u32_e32 v8, vcc, v13, v8, vcc
	v_addc_co_u32_e64 v15, s[2:3], 0, v10, s[2:3]
	v_cmp_le_u32_e32 vcc, s47, v8
	v_add_co_u32_e64 v16, s[2:3], 1, v9
	v_cndmask_b32_e64 v13, 0, -1, vcc
	v_cmp_le_u32_e32 vcc, s46, v7
	v_addc_co_u32_e64 v17, s[2:3], 0, v10, s[2:3]
	v_cndmask_b32_e64 v7, 0, -1, vcc
	v_cmp_eq_u32_e32 vcc, s47, v8
	v_cmp_ne_u32_e64 s[2:3], 0, v12
	v_cndmask_b32_e32 v7, v13, v7, vcc
	v_cndmask_b32_e64 v12, v17, v15, s[2:3]
	v_cmp_ne_u32_e32 vcc, 0, v7
	v_cndmask_b32_e64 v8, v16, v14, s[2:3]
	v_cndmask_b32_e32 v7, v10, v12, vcc
	v_cndmask_b32_e32 v8, v9, v8, vcc
	v_xor_b32_e32 v9, v7, v1
	v_xor_b32_e32 v7, v8, v1
	v_sub_co_u32_e32 v7, vcc, v7, v1
	v_subb_co_u32_e32 v8, vcc, v9, v1, vcc
.LBB5_22:
	s_andn2_saveexec_b64 s[2:3], s[42:43]
	s_cbranch_execz .LBB5_24
; %bb.23:
	v_cvt_f32_u32_e32 v1, s16
	s_sub_i32 s24, 0, s16
	v_rcp_iflag_f32_e32 v1, v1
	v_mul_f32_e32 v1, 0x4f7ffffe, v1
	v_cvt_u32_f32_e32 v1, v1
	v_mul_lo_u32 v7, s24, v1
	v_mul_hi_u32 v7, v1, v7
	v_add_u32_e32 v1, v1, v7
	v_mul_hi_u32 v1, v3, v1
	v_mul_lo_u32 v7, v1, s16
	v_add_u32_e32 v8, 1, v1
	v_sub_u32_e32 v7, v3, v7
	v_subrev_u32_e32 v9, s16, v7
	v_cmp_le_u32_e32 vcc, s16, v7
	v_cndmask_b32_e32 v7, v7, v9, vcc
	v_cndmask_b32_e32 v1, v1, v8, vcc
	v_add_u32_e32 v8, 1, v1
	v_cmp_le_u32_e32 vcc, s16, v7
	v_cndmask_b32_e32 v7, v1, v8, vcc
	v_mov_b32_e32 v8, 0
.LBB5_24:
	s_or_b64 exec, exec, s[2:3]
	v_mul_lo_u32 v1, v6, s16
	v_mul_lo_u32 v12, v5, s17
	v_mad_u64_u32 v[9:10], s[2:3], v5, s16, 0
	v_add3_u32 v10, v10, v12, v1
	v_cmp_gt_i64_e32 vcc, v[9:10], v[3:4]
	v_mov_b32_e32 v1, s15
	v_add_co_u32_e64 v9, s[2:3], s14, v9
	v_addc_co_u32_e64 v10, s[2:3], v10, v1, s[2:3]
	v_cmp_ge_i64_e64 s[2:3], v[3:4], v[9:10]
	s_or_b64 s[2:3], vcc, s[2:3]
	v_cndmask_b32_e64 v1, 0, 1, s[2:3]
	v_add_co_u32_e32 v9, vcc, v5, v1
	v_addc_co_u32_e32 v10, vcc, 0, v6, vcc
	v_cmp_gt_i64_e32 vcc, s[4:5], v[7:8]
	v_mov_b32_e32 v1, s5
	v_cndmask_b32_e32 v6, v1, v8, vcc
	v_mov_b32_e32 v1, s4
	v_cndmask_b32_e32 v5, v1, v7, vcc
	v_cmp_le_i64_e32 vcc, v[9:10], v[5:6]
	s_and_saveexec_b64 s[42:43], vcc
	s_cbranch_execz .LBB5_27
; %bb.25:
	global_load_dwordx2 v[7:8], v2, s[8:9]
	v_mul_lo_u32 v15, s17, v9
	v_mul_lo_u32 v16, s16, v10
	v_mad_u64_u32 v[12:13], s[2:3], s16, v9, 0
	v_mov_b32_e32 v14, s9
	v_add_co_u32_e32 v1, vcc, s8, v2
	v_addc_co_u32_e32 v2, vcc, 0, v14, vcc
	v_add3_u32 v13, v13, v16, v15
	v_sub_co_u32_e32 v3, vcc, v3, v12
	v_subb_co_u32_e32 v4, vcc, v4, v13, vcc
	v_mul_lo_u32 v16, s23, v3
	v_mul_lo_u32 v17, s22, v4
	v_mad_u64_u32 v[12:13], s[2:3], s22, v3, 0
	v_mul_lo_u32 v18, s21, v9
	v_mul_lo_u32 v19, s20, v10
	v_mad_u64_u32 v[14:15], s[2:3], s20, v9, 0
	v_add_co_u32_e32 v3, vcc, -1, v9
	v_add3_u32 v13, v13, v17, v16
	v_add3_u32 v15, v15, v19, v18
	v_addc_co_u32_e32 v4, vcc, -1, v10, vcc
	v_lshlrev_b64 v[9:10], 3, v[12:13]
	v_lshlrev_b64 v[12:13], 3, v[14:15]
	s_mul_i32 s24, s16, s23
	v_add_co_u32_e32 v9, vcc, v9, v12
	s_mul_hi_u32 s44, s16, s22
	v_addc_co_u32_e32 v10, vcc, v10, v13, vcc
	s_add_i32 s24, s44, s24
	s_mul_i32 s44, s17, s22
	v_add_co_u32_e32 v0, vcc, v9, v0
	s_add_i32 s45, s24, s44
	s_mul_i32 s44, s16, s22
	v_addc_co_u32_e32 v10, vcc, 0, v10, vcc
	s_lshl_b64 s[2:3], s[20:21], 3
	s_lshl_b64 s[44:45], s[44:45], 3
	v_mov_b32_e32 v12, s11
	v_add_co_u32_e32 v9, vcc, s10, v0
	s_sub_u32 s24, s2, s44
	v_addc_co_u32_e32 v10, vcc, v12, v10, vcc
	s_subb_u32 s46, s3, s45
	s_mov_b64 s[44:45], 0
.LBB5_26:                               ; =>This Inner Loop Header: Depth=1
	global_load_dwordx2 v[12:13], v[9:10], off
	v_add_co_u32_e32 v3, vcc, 1, v3
	v_addc_co_u32_e32 v4, vcc, 0, v4, vcc
	v_cmp_ge_i64_e64 s[2:3], v[3:4], v[5:6]
	v_mov_b32_e32 v0, s46
	v_add_co_u32_e32 v9, vcc, s24, v9
	v_addc_co_u32_e32 v10, vcc, v10, v0, vcc
	s_or_b64 s[44:45], s[2:3], s[44:45]
	s_waitcnt vmcnt(0)
	v_add_f64 v[7:8], v[7:8], v[12:13]
	global_store_dwordx2 v[1:2], v[7:8], off
	s_andn2_b64 exec, exec, s[44:45]
	s_cbranch_execnz .LBB5_26
.LBB5_27:
	s_or_b64 exec, exec, s[42:43]
	v_add_u32_e32 v11, 0x100, v11
	s_or_b64 exec, exec, s[18:19]
	v_cmp_gt_i32_e32 vcc, s51, v11
	s_and_saveexec_b64 s[18:19], vcc
	s_cbranch_execz .LBB5_2
.LBB5_28:
	s_and_b64 vcc, exec, s[0:1]
	s_cbranch_vccnz .LBB5_35
; %bb.29:
	v_mov_b32_e32 v2, 0
	s_andn2_b64 vcc, exec, s[40:41]
	v_mov_b32_e32 v0, 0
	v_mov_b32_e32 v4, 0
	s_cbranch_vccnz .LBB5_34
; %bb.30:
	s_add_i32 s2, s31, 1
	s_and_b32 s24, s2, 30
	s_add_u32 s2, s33, 0xffffffe8
	s_addc_u32 s3, s50, -1
	v_mov_b32_e32 v4, 0
	v_mov_b32_e32 v0, 0
	;; [unrolled: 1-line block ×4, first 2 shown]
.LBB5_31:                               ; =>This Inner Loop Header: Depth=1
	s_load_dwordx4 s[44:47], s[2:3], 0x1c
	s_load_dwordx2 s[42:43], s[2:3], 0x2c
	s_load_dwordx2 s[48:49], s[2:3], 0xec
	s_load_dwordx4 s[52:55], s[2:3], 0xdc
	s_add_u32 s2, s2, 24
	s_waitcnt lgkmcnt(0)
	v_mul_hi_u32 v3, s45, v1
	s_addc_u32 s3, s3, 0
	s_add_i32 s24, s24, -2
	s_cmp_eq_u32 s24, 0
	v_add_u32_e32 v3, v1, v3
	v_lshrrev_b32_e32 v3, s46, v3
	v_mul_lo_u32 v5, v3, s44
	v_mul_hi_u32 v6, s42, v3
	v_sub_u32_e32 v5, v1, v5
	v_add_u32_e32 v1, v3, v6
	v_lshrrev_b32_e32 v1, s43, v1
	v_mul_lo_u32 v8, v1, s47
	v_mul_lo_u32 v6, v5, s52
	;; [unrolled: 1-line block ×4, first 2 shown]
	v_sub_u32_e32 v3, v3, v8
	v_mul_lo_u32 v8, v3, s55
	v_mul_lo_u32 v9, v3, s48
	v_mul_lo_u32 v3, v3, s49
	v_add3_u32 v2, v6, v2, v8
	v_add3_u32 v0, v7, v0, v9
	v_add3_u32 v4, v5, v4, v3
	s_cbranch_scc0 .LBB5_31
; %bb.32:
	s_bitcmp1_b32 s31, 0
	s_cselect_b64 s[42:43], -1, 0
	s_and_b64 vcc, exec, s[42:43]
	s_cbranch_vccnz .LBB5_34
; %bb.33:
	s_load_dwordx2 s[42:43], s[2:3], 0x1c
	s_load_dword s24, s[2:3], 0x24
	s_load_dwordx2 s[44:45], s[2:3], 0xdc
	s_waitcnt lgkmcnt(0)
	v_mul_hi_u32 v3, s43, v1
	v_add_u32_e32 v3, v1, v3
	v_lshrrev_b32_e32 v3, s24, v3
	v_mul_lo_u32 v3, v3, s42
	s_load_dword s24, s[2:3], 0xe4
	v_sub_u32_e32 v5, v1, v3
	v_mad_u64_u32 v[2:3], s[2:3], v5, s44, v[2:3]
	v_mad_u64_u32 v[0:1], s[2:3], v5, s45, v[0:1]
	s_waitcnt lgkmcnt(0)
	v_mad_u64_u32 v[4:5], s[2:3], v5, s24, v[4:5]
.LBB5_34:
	s_cbranch_execz .LBB5_36
	s_branch .LBB5_38
.LBB5_35:
                                        ; implicit-def: $vgpr2
                                        ; implicit-def: $vgpr0
                                        ; implicit-def: $vgpr4
.LBB5_36:
	v_mul_hi_u32 v0, s26, v11
	s_andn2_b64 vcc, exec, s[34:35]
	v_add_u32_e32 v0, v11, v0
	v_lshrrev_b32_e32 v1, s27, v0
	v_mul_lo_u32 v0, v1, s25
	v_sub_u32_e32 v3, v11, v0
	v_mul_lo_u32 v2, v3, s36
	v_mul_lo_u32 v0, v3, s37
	;; [unrolled: 1-line block ×3, first 2 shown]
	s_cbranch_vccnz .LBB5_38
; %bb.37:
	v_mul_hi_u32 v3, s29, v1
	v_add_u32_e32 v3, v1, v3
	v_lshrrev_b32_e32 v3, s30, v3
	v_mul_lo_u32 v3, v3, s28
	v_sub_u32_e32 v5, v1, v3
	v_mad_u64_u32 v[2:3], s[2:3], v5, s39, v[2:3]
	v_mad_u64_u32 v[0:1], s[2:3], v5, s6, v[0:1]
	;; [unrolled: 1-line block ×3, first 2 shown]
.LBB5_38:
	global_load_dwordx2 v[3:4], v4, s[12:13]
	v_mov_b32_e32 v5, 0
	v_mov_b32_e32 v6, 0
	s_waitcnt vmcnt(0)
	v_cmp_lt_i64_e32 vcc, s[14:15], v[3:4]
	s_and_saveexec_b64 s[42:43], vcc
	s_cbranch_execz .LBB5_44
; %bb.39:
	v_mov_b32_e32 v5, s15
	v_subrev_co_u32_e32 v1, vcc, s14, v3
	v_subb_co_u32_e32 v7, vcc, v4, v5, vcc
	v_or_b32_e32 v6, s17, v7
	v_mov_b32_e32 v5, 0
	v_cmp_ne_u64_e32 vcc, 0, v[5:6]
                                        ; implicit-def: $vgpr5_vgpr6
	s_and_saveexec_b64 s[2:3], vcc
	s_xor_b64 s[44:45], exec, s[2:3]
	s_cbranch_execz .LBB5_41
; %bb.40:
	s_ashr_i32 s46, s17, 31
	s_add_u32 s2, s16, s46
	s_mov_b32 s47, s46
	s_addc_u32 s3, s17, s46
	s_xor_b64 s[48:49], s[2:3], s[46:47]
	v_cvt_f32_u32_e32 v5, s48
	v_cvt_f32_u32_e32 v6, s49
	s_sub_u32 s24, 0, s48
	s_subb_u32 s47, 0, s49
	v_ashrrev_i32_e32 v9, 31, v7
	v_madmk_f32 v5, v6, 0x4f800000, v5
	v_rcp_f32_e32 v5, v5
	v_add_co_u32_e32 v1, vcc, v1, v9
	v_xor_b32_e32 v1, v1, v9
	v_mul_f32_e32 v5, 0x5f7ffffc, v5
	v_mul_f32_e32 v6, 0x2f800000, v5
	v_trunc_f32_e32 v6, v6
	v_madmk_f32 v5, v6, 0xcf800000, v5
	v_cvt_u32_f32_e32 v6, v6
	v_cvt_u32_f32_e32 v5, v5
	v_addc_co_u32_e32 v7, vcc, v7, v9, vcc
	v_readfirstlane_b32 s52, v6
	v_readfirstlane_b32 s2, v5
	s_mul_i32 s3, s24, s52
	s_mul_hi_u32 s54, s24, s2
	s_mul_i32 s53, s47, s2
	s_add_i32 s3, s54, s3
	s_add_i32 s3, s3, s53
	s_mul_i32 s55, s24, s2
	s_mul_i32 s54, s2, s3
	s_mul_hi_u32 s56, s2, s55
	s_mul_hi_u32 s53, s2, s3
	s_add_u32 s54, s56, s54
	s_addc_u32 s53, 0, s53
	s_mul_hi_u32 s57, s52, s55
	s_mul_i32 s55, s52, s55
	s_add_u32 s54, s54, s55
	s_mul_hi_u32 s56, s52, s3
	s_addc_u32 s53, s53, s57
	s_addc_u32 s54, s56, 0
	s_mul_i32 s3, s52, s3
	s_add_u32 s3, s53, s3
	s_addc_u32 s53, 0, s54
	s_add_u32 s54, s2, s3
	s_cselect_b64 s[2:3], -1, 0
	s_cmp_lg_u64 s[2:3], 0
	s_addc_u32 s52, s52, s53
	s_mul_i32 s2, s24, s52
	s_mul_hi_u32 s3, s24, s54
	s_add_i32 s2, s3, s2
	s_mul_i32 s47, s47, s54
	s_add_i32 s2, s2, s47
	s_mul_i32 s24, s24, s54
	s_mul_hi_u32 s47, s52, s24
	s_mul_i32 s53, s52, s24
	s_mul_i32 s56, s54, s2
	s_mul_hi_u32 s24, s54, s24
	s_mul_hi_u32 s55, s54, s2
	s_add_u32 s24, s24, s56
	s_addc_u32 s55, 0, s55
	s_add_u32 s24, s24, s53
	s_mul_hi_u32 s3, s52, s2
	s_addc_u32 s24, s55, s47
	s_addc_u32 s3, s3, 0
	s_mul_i32 s2, s52, s2
	s_add_u32 s2, s24, s2
	s_addc_u32 s24, 0, s3
	s_add_u32 s47, s54, s2
	s_cselect_b64 s[2:3], -1, 0
	s_cmp_lg_u64 s[2:3], 0
	s_addc_u32 s24, s52, s24
	v_mad_u64_u32 v[5:6], s[2:3], v1, s24, 0
	v_mul_hi_u32 v8, v1, s47
	v_xor_b32_e32 v10, v7, v9
	v_add_co_u32_e32 v12, vcc, v8, v5
	v_addc_co_u32_e32 v13, vcc, 0, v6, vcc
	v_mad_u64_u32 v[5:6], s[2:3], v10, s47, 0
	v_mad_u64_u32 v[7:8], s[2:3], v10, s24, 0
	v_add_co_u32_e32 v5, vcc, v12, v5
	v_addc_co_u32_e32 v5, vcc, v13, v6, vcc
	v_addc_co_u32_e32 v6, vcc, 0, v8, vcc
	v_add_co_u32_e32 v7, vcc, v5, v7
	v_addc_co_u32_e32 v8, vcc, 0, v6, vcc
	v_mul_lo_u32 v12, s49, v7
	v_mul_lo_u32 v13, s48, v8
	v_mad_u64_u32 v[5:6], s[2:3], s48, v7, 0
	v_add3_u32 v6, v6, v13, v12
	v_sub_u32_e32 v12, v10, v6
	v_mov_b32_e32 v13, s49
	v_sub_co_u32_e32 v1, vcc, v1, v5
	v_subb_co_u32_e64 v5, s[2:3], v12, v13, vcc
	v_subrev_co_u32_e64 v12, s[2:3], s48, v1
	v_subbrev_co_u32_e64 v5, s[2:3], 0, v5, s[2:3]
	v_cmp_le_u32_e64 s[2:3], s49, v5
	v_cndmask_b32_e64 v13, 0, -1, s[2:3]
	v_cmp_le_u32_e64 s[2:3], s48, v12
	v_cndmask_b32_e64 v12, 0, -1, s[2:3]
	v_cmp_eq_u32_e64 s[2:3], s49, v5
	v_cndmask_b32_e64 v5, v13, v12, s[2:3]
	v_add_co_u32_e64 v12, s[2:3], 2, v7
	v_subb_co_u32_e32 v6, vcc, v10, v6, vcc
	v_addc_co_u32_e64 v13, s[2:3], 0, v8, s[2:3]
	v_cmp_le_u32_e32 vcc, s49, v6
	v_add_co_u32_e64 v14, s[2:3], 1, v7
	v_cndmask_b32_e64 v10, 0, -1, vcc
	v_cmp_le_u32_e32 vcc, s48, v1
	v_addc_co_u32_e64 v15, s[2:3], 0, v8, s[2:3]
	v_cndmask_b32_e64 v1, 0, -1, vcc
	v_cmp_eq_u32_e32 vcc, s49, v6
	v_cmp_ne_u32_e64 s[2:3], 0, v5
	v_cndmask_b32_e32 v1, v10, v1, vcc
	v_cndmask_b32_e64 v5, v15, v13, s[2:3]
	v_cmp_ne_u32_e32 vcc, 0, v1
	v_cndmask_b32_e32 v1, v8, v5, vcc
	v_cndmask_b32_e64 v5, v14, v12, s[2:3]
	v_cndmask_b32_e32 v5, v7, v5, vcc
	v_xor_b32_e32 v6, s46, v9
	v_xor_b32_e32 v5, v5, v6
	;; [unrolled: 1-line block ×3, first 2 shown]
	v_sub_co_u32_e32 v5, vcc, v5, v6
	v_subb_co_u32_e32 v6, vcc, v1, v6, vcc
                                        ; implicit-def: $vgpr1
.LBB5_41:
	s_andn2_saveexec_b64 s[2:3], s[44:45]
	s_cbranch_execz .LBB5_43
; %bb.42:
	v_cvt_f32_u32_e32 v5, s16
	s_sub_i32 s24, 0, s16
	v_rcp_iflag_f32_e32 v5, v5
	v_mul_f32_e32 v5, 0x4f7ffffe, v5
	v_cvt_u32_f32_e32 v5, v5
	v_mul_lo_u32 v6, s24, v5
	v_mul_hi_u32 v6, v5, v6
	v_add_u32_e32 v5, v5, v6
	v_mul_hi_u32 v5, v1, v5
	v_mul_lo_u32 v6, v5, s16
	v_add_u32_e32 v7, 1, v5
	v_sub_u32_e32 v1, v1, v6
	v_subrev_u32_e32 v6, s16, v1
	v_cmp_le_u32_e32 vcc, s16, v1
	v_cndmask_b32_e32 v1, v1, v6, vcc
	v_cndmask_b32_e32 v5, v5, v7, vcc
	v_add_u32_e32 v6, 1, v5
	v_cmp_le_u32_e32 vcc, s16, v1
	v_cndmask_b32_e32 v5, v5, v6, vcc
	v_mov_b32_e32 v6, 0
.LBB5_43:
	s_or_b64 exec, exec, s[2:3]
.LBB5_44:
	s_or_b64 exec, exec, s[42:43]
	v_or_b32_e32 v8, s17, v4
	v_mov_b32_e32 v7, 0
	v_cmp_ne_u64_e32 vcc, 0, v[7:8]
                                        ; implicit-def: $vgpr7_vgpr8
	s_and_saveexec_b64 s[2:3], vcc
	s_xor_b64 s[42:43], exec, s[2:3]
	s_cbranch_execz .LBB5_46
; %bb.45:
	s_ashr_i32 s44, s17, 31
	s_add_u32 s2, s16, s44
	s_mov_b32 s45, s44
	s_addc_u32 s3, s17, s44
	s_xor_b64 s[46:47], s[2:3], s[44:45]
	v_cvt_f32_u32_e32 v1, s46
	v_cvt_f32_u32_e32 v7, s47
	s_sub_u32 s24, 0, s46
	s_subb_u32 s45, 0, s47
	v_madmk_f32 v1, v7, 0x4f800000, v1
	v_rcp_f32_e32 v1, v1
	v_mul_f32_e32 v1, 0x5f7ffffc, v1
	v_mul_f32_e32 v7, 0x2f800000, v1
	v_trunc_f32_e32 v7, v7
	v_madmk_f32 v1, v7, 0xcf800000, v1
	v_cvt_u32_f32_e32 v7, v7
	v_cvt_u32_f32_e32 v1, v1
	v_readfirstlane_b32 s48, v7
	v_readfirstlane_b32 s2, v1
	s_mul_i32 s3, s24, s48
	s_mul_hi_u32 s52, s24, s2
	s_mul_i32 s49, s45, s2
	s_add_i32 s3, s52, s3
	s_add_i32 s3, s3, s49
	s_mul_i32 s53, s24, s2
	s_mul_i32 s52, s2, s3
	s_mul_hi_u32 s54, s2, s53
	s_mul_hi_u32 s49, s2, s3
	s_add_u32 s52, s54, s52
	s_addc_u32 s49, 0, s49
	s_mul_hi_u32 s55, s48, s53
	s_mul_i32 s53, s48, s53
	s_add_u32 s52, s52, s53
	s_mul_hi_u32 s54, s48, s3
	s_addc_u32 s49, s49, s55
	s_addc_u32 s52, s54, 0
	s_mul_i32 s3, s48, s3
	s_add_u32 s3, s49, s3
	s_addc_u32 s49, 0, s52
	s_add_u32 s52, s2, s3
	s_cselect_b64 s[2:3], -1, 0
	s_cmp_lg_u64 s[2:3], 0
	s_addc_u32 s48, s48, s49
	s_mul_i32 s2, s24, s48
	s_mul_hi_u32 s3, s24, s52
	s_add_i32 s2, s3, s2
	s_mul_i32 s45, s45, s52
	s_add_i32 s2, s2, s45
	s_mul_i32 s24, s24, s52
	s_mul_hi_u32 s45, s48, s24
	s_mul_i32 s49, s48, s24
	s_mul_i32 s54, s52, s2
	s_mul_hi_u32 s24, s52, s24
	s_mul_hi_u32 s53, s52, s2
	s_add_u32 s24, s24, s54
	s_addc_u32 s53, 0, s53
	s_add_u32 s24, s24, s49
	s_mul_hi_u32 s3, s48, s2
	s_addc_u32 s24, s53, s45
	s_addc_u32 s3, s3, 0
	s_mul_i32 s2, s48, s2
	s_add_u32 s2, s24, s2
	s_addc_u32 s24, 0, s3
	s_add_u32 s45, s52, s2
	s_cselect_b64 s[2:3], -1, 0
	v_ashrrev_i32_e32 v1, 31, v4
	s_cmp_lg_u64 s[2:3], 0
	v_add_co_u32_e32 v7, vcc, v3, v1
	s_addc_u32 s24, s48, s24
	v_xor_b32_e32 v12, v7, v1
	v_mad_u64_u32 v[7:8], s[2:3], v12, s24, 0
	v_mul_hi_u32 v10, v12, s45
	v_addc_co_u32_e32 v9, vcc, v4, v1, vcc
	v_xor_b32_e32 v13, v9, v1
	v_add_co_u32_e32 v14, vcc, v10, v7
	v_addc_co_u32_e32 v15, vcc, 0, v8, vcc
	v_mad_u64_u32 v[7:8], s[2:3], v13, s45, 0
	v_mad_u64_u32 v[9:10], s[2:3], v13, s24, 0
	v_add_co_u32_e32 v7, vcc, v14, v7
	v_addc_co_u32_e32 v7, vcc, v15, v8, vcc
	v_addc_co_u32_e32 v8, vcc, 0, v10, vcc
	v_add_co_u32_e32 v9, vcc, v7, v9
	v_addc_co_u32_e32 v10, vcc, 0, v8, vcc
	v_mul_lo_u32 v14, s47, v9
	v_mul_lo_u32 v15, s46, v10
	v_mad_u64_u32 v[7:8], s[2:3], s46, v9, 0
	v_xor_b32_e32 v1, s44, v1
	v_add3_u32 v8, v8, v15, v14
	v_sub_u32_e32 v14, v13, v8
	v_mov_b32_e32 v15, s47
	v_sub_co_u32_e32 v7, vcc, v12, v7
	v_subb_co_u32_e64 v12, s[2:3], v14, v15, vcc
	v_subrev_co_u32_e64 v14, s[2:3], s46, v7
	v_subbrev_co_u32_e64 v12, s[2:3], 0, v12, s[2:3]
	v_cmp_le_u32_e64 s[2:3], s47, v12
	v_cndmask_b32_e64 v15, 0, -1, s[2:3]
	v_cmp_le_u32_e64 s[2:3], s46, v14
	v_cndmask_b32_e64 v14, 0, -1, s[2:3]
	v_cmp_eq_u32_e64 s[2:3], s47, v12
	v_cndmask_b32_e64 v12, v15, v14, s[2:3]
	v_add_co_u32_e64 v14, s[2:3], 2, v9
	v_subb_co_u32_e32 v8, vcc, v13, v8, vcc
	v_addc_co_u32_e64 v15, s[2:3], 0, v10, s[2:3]
	v_cmp_le_u32_e32 vcc, s47, v8
	v_add_co_u32_e64 v16, s[2:3], 1, v9
	v_cndmask_b32_e64 v13, 0, -1, vcc
	v_cmp_le_u32_e32 vcc, s46, v7
	v_addc_co_u32_e64 v17, s[2:3], 0, v10, s[2:3]
	v_cndmask_b32_e64 v7, 0, -1, vcc
	v_cmp_eq_u32_e32 vcc, s47, v8
	v_cmp_ne_u32_e64 s[2:3], 0, v12
	v_cndmask_b32_e32 v7, v13, v7, vcc
	v_cndmask_b32_e64 v12, v17, v15, s[2:3]
	v_cmp_ne_u32_e32 vcc, 0, v7
	v_cndmask_b32_e64 v8, v16, v14, s[2:3]
	v_cndmask_b32_e32 v7, v10, v12, vcc
	v_cndmask_b32_e32 v8, v9, v8, vcc
	v_xor_b32_e32 v9, v7, v1
	v_xor_b32_e32 v7, v8, v1
	v_sub_co_u32_e32 v7, vcc, v7, v1
	v_subb_co_u32_e32 v8, vcc, v9, v1, vcc
.LBB5_46:
	s_andn2_saveexec_b64 s[2:3], s[42:43]
	s_cbranch_execz .LBB5_48
; %bb.47:
	v_cvt_f32_u32_e32 v1, s16
	s_sub_i32 s24, 0, s16
	v_rcp_iflag_f32_e32 v1, v1
	v_mul_f32_e32 v1, 0x4f7ffffe, v1
	v_cvt_u32_f32_e32 v1, v1
	v_mul_lo_u32 v7, s24, v1
	v_mul_hi_u32 v7, v1, v7
	v_add_u32_e32 v1, v1, v7
	v_mul_hi_u32 v1, v3, v1
	v_mul_lo_u32 v7, v1, s16
	v_add_u32_e32 v8, 1, v1
	v_sub_u32_e32 v7, v3, v7
	v_subrev_u32_e32 v9, s16, v7
	v_cmp_le_u32_e32 vcc, s16, v7
	v_cndmask_b32_e32 v7, v7, v9, vcc
	v_cndmask_b32_e32 v1, v1, v8, vcc
	v_add_u32_e32 v8, 1, v1
	v_cmp_le_u32_e32 vcc, s16, v7
	v_cndmask_b32_e32 v7, v1, v8, vcc
	v_mov_b32_e32 v8, 0
.LBB5_48:
	s_or_b64 exec, exec, s[2:3]
	v_mul_lo_u32 v1, v6, s16
	v_mul_lo_u32 v12, v5, s17
	v_mad_u64_u32 v[9:10], s[2:3], v5, s16, 0
	v_add3_u32 v10, v10, v12, v1
	v_cmp_gt_i64_e32 vcc, v[9:10], v[3:4]
	v_mov_b32_e32 v1, s15
	v_add_co_u32_e64 v9, s[2:3], s14, v9
	v_addc_co_u32_e64 v10, s[2:3], v10, v1, s[2:3]
	v_cmp_ge_i64_e64 s[2:3], v[3:4], v[9:10]
	s_or_b64 s[2:3], vcc, s[2:3]
	v_cndmask_b32_e64 v1, 0, 1, s[2:3]
	v_add_co_u32_e32 v9, vcc, v5, v1
	v_addc_co_u32_e32 v10, vcc, 0, v6, vcc
	v_cmp_gt_i64_e32 vcc, s[4:5], v[7:8]
	v_mov_b32_e32 v1, s5
	v_cndmask_b32_e32 v6, v1, v8, vcc
	v_mov_b32_e32 v1, s4
	v_cndmask_b32_e32 v5, v1, v7, vcc
	v_cmp_le_i64_e32 vcc, v[9:10], v[5:6]
	s_and_saveexec_b64 s[42:43], vcc
	s_cbranch_execz .LBB5_51
; %bb.49:
	global_load_dwordx2 v[7:8], v2, s[8:9]
	v_mul_lo_u32 v15, s17, v9
	v_mul_lo_u32 v16, s16, v10
	v_mad_u64_u32 v[12:13], s[2:3], s16, v9, 0
	v_mov_b32_e32 v14, s9
	v_add_co_u32_e32 v1, vcc, s8, v2
	v_addc_co_u32_e32 v2, vcc, 0, v14, vcc
	v_add3_u32 v13, v13, v16, v15
	v_sub_co_u32_e32 v3, vcc, v3, v12
	v_subb_co_u32_e32 v4, vcc, v4, v13, vcc
	v_mul_lo_u32 v16, s23, v3
	v_mul_lo_u32 v17, s22, v4
	v_mad_u64_u32 v[12:13], s[2:3], s22, v3, 0
	v_mul_lo_u32 v18, s21, v9
	v_mul_lo_u32 v19, s20, v10
	v_mad_u64_u32 v[14:15], s[2:3], s20, v9, 0
	v_add_co_u32_e32 v3, vcc, -1, v9
	v_add3_u32 v13, v13, v17, v16
	v_add3_u32 v15, v15, v19, v18
	v_addc_co_u32_e32 v4, vcc, -1, v10, vcc
	v_lshlrev_b64 v[9:10], 3, v[12:13]
	v_lshlrev_b64 v[12:13], 3, v[14:15]
	s_mul_i32 s24, s16, s23
	v_add_co_u32_e32 v9, vcc, v9, v12
	s_mul_hi_u32 s44, s16, s22
	v_addc_co_u32_e32 v10, vcc, v10, v13, vcc
	s_add_i32 s24, s44, s24
	s_mul_i32 s44, s17, s22
	v_add_co_u32_e32 v0, vcc, v9, v0
	s_add_i32 s45, s24, s44
	s_mul_i32 s44, s16, s22
	v_addc_co_u32_e32 v10, vcc, 0, v10, vcc
	s_lshl_b64 s[2:3], s[20:21], 3
	s_lshl_b64 s[44:45], s[44:45], 3
	v_mov_b32_e32 v12, s11
	v_add_co_u32_e32 v9, vcc, s10, v0
	s_sub_u32 s24, s2, s44
	v_addc_co_u32_e32 v10, vcc, v12, v10, vcc
	s_subb_u32 s46, s3, s45
	s_mov_b64 s[44:45], 0
.LBB5_50:                               ; =>This Inner Loop Header: Depth=1
	global_load_dwordx2 v[12:13], v[9:10], off
	v_add_co_u32_e32 v3, vcc, 1, v3
	v_addc_co_u32_e32 v4, vcc, 0, v4, vcc
	v_cmp_ge_i64_e64 s[2:3], v[3:4], v[5:6]
	v_mov_b32_e32 v0, s46
	v_add_co_u32_e32 v9, vcc, s24, v9
	v_addc_co_u32_e32 v10, vcc, v10, v0, vcc
	s_or_b64 s[44:45], s[2:3], s[44:45]
	s_waitcnt vmcnt(0)
	v_add_f64 v[7:8], v[7:8], v[12:13]
	global_store_dwordx2 v[1:2], v[7:8], off
	s_andn2_b64 exec, exec, s[44:45]
	s_cbranch_execnz .LBB5_50
.LBB5_51:
	s_or_b64 exec, exec, s[42:43]
	v_add_u32_e32 v11, 0x100, v11
	s_or_b64 exec, exec, s[18:19]
	v_cmp_gt_i32_e32 vcc, s51, v11
	s_and_saveexec_b64 s[18:19], vcc
	s_cbranch_execz .LBB5_3
.LBB5_52:
	s_and_b64 vcc, exec, s[0:1]
	s_cbranch_vccnz .LBB5_59
; %bb.53:
	v_mov_b32_e32 v2, 0
	s_andn2_b64 vcc, exec, s[40:41]
	v_mov_b32_e32 v0, 0
	v_mov_b32_e32 v4, 0
	s_cbranch_vccnz .LBB5_58
; %bb.54:
	s_add_i32 s2, s31, 1
	s_and_b32 s24, s2, 30
	s_add_u32 s2, s33, 0xffffffe8
	s_addc_u32 s3, s50, -1
	v_mov_b32_e32 v4, 0
	v_mov_b32_e32 v0, 0
	;; [unrolled: 1-line block ×4, first 2 shown]
.LBB5_55:                               ; =>This Inner Loop Header: Depth=1
	s_load_dwordx4 s[44:47], s[2:3], 0x1c
	s_load_dwordx2 s[42:43], s[2:3], 0x2c
	s_load_dwordx2 s[48:49], s[2:3], 0xec
	s_load_dwordx4 s[52:55], s[2:3], 0xdc
	s_add_u32 s2, s2, 24
	s_waitcnt lgkmcnt(0)
	v_mul_hi_u32 v3, s45, v1
	s_addc_u32 s3, s3, 0
	s_add_i32 s24, s24, -2
	s_cmp_eq_u32 s24, 0
	v_add_u32_e32 v3, v1, v3
	v_lshrrev_b32_e32 v3, s46, v3
	v_mul_lo_u32 v5, v3, s44
	v_mul_hi_u32 v6, s42, v3
	v_sub_u32_e32 v5, v1, v5
	v_add_u32_e32 v1, v3, v6
	v_lshrrev_b32_e32 v1, s43, v1
	v_mul_lo_u32 v8, v1, s47
	v_mul_lo_u32 v6, v5, s52
	;; [unrolled: 1-line block ×4, first 2 shown]
	v_sub_u32_e32 v3, v3, v8
	v_mul_lo_u32 v8, v3, s55
	v_mul_lo_u32 v9, v3, s48
	;; [unrolled: 1-line block ×3, first 2 shown]
	v_add3_u32 v2, v6, v2, v8
	v_add3_u32 v0, v7, v0, v9
	;; [unrolled: 1-line block ×3, first 2 shown]
	s_cbranch_scc0 .LBB5_55
; %bb.56:
	s_bitcmp1_b32 s31, 0
	s_cselect_b64 s[42:43], -1, 0
	s_and_b64 vcc, exec, s[42:43]
	s_cbranch_vccnz .LBB5_58
; %bb.57:
	s_load_dwordx2 s[42:43], s[2:3], 0x1c
	s_load_dword s24, s[2:3], 0x24
	s_load_dwordx2 s[44:45], s[2:3], 0xdc
	s_waitcnt lgkmcnt(0)
	v_mul_hi_u32 v3, s43, v1
	v_add_u32_e32 v3, v1, v3
	v_lshrrev_b32_e32 v3, s24, v3
	v_mul_lo_u32 v3, v3, s42
	s_load_dword s24, s[2:3], 0xe4
	v_sub_u32_e32 v5, v1, v3
	v_mad_u64_u32 v[2:3], s[2:3], v5, s44, v[2:3]
	v_mad_u64_u32 v[0:1], s[2:3], v5, s45, v[0:1]
	s_waitcnt lgkmcnt(0)
	v_mad_u64_u32 v[4:5], s[2:3], v5, s24, v[4:5]
.LBB5_58:
	s_cbranch_execz .LBB5_60
	s_branch .LBB5_62
.LBB5_59:
                                        ; implicit-def: $vgpr2
                                        ; implicit-def: $vgpr0
                                        ; implicit-def: $vgpr4
.LBB5_60:
	v_mul_hi_u32 v0, s26, v11
	s_andn2_b64 vcc, exec, s[34:35]
	v_add_u32_e32 v0, v11, v0
	v_lshrrev_b32_e32 v1, s27, v0
	v_mul_lo_u32 v0, v1, s25
	v_sub_u32_e32 v3, v11, v0
	v_mul_lo_u32 v2, v3, s36
	v_mul_lo_u32 v0, v3, s37
	;; [unrolled: 1-line block ×3, first 2 shown]
	s_cbranch_vccnz .LBB5_62
; %bb.61:
	v_mul_hi_u32 v3, s29, v1
	v_add_u32_e32 v3, v1, v3
	v_lshrrev_b32_e32 v3, s30, v3
	v_mul_lo_u32 v3, v3, s28
	v_sub_u32_e32 v5, v1, v3
	v_mad_u64_u32 v[2:3], s[2:3], v5, s39, v[2:3]
	v_mad_u64_u32 v[0:1], s[2:3], v5, s6, v[0:1]
	;; [unrolled: 1-line block ×3, first 2 shown]
.LBB5_62:
	global_load_dwordx2 v[3:4], v4, s[12:13]
	v_mov_b32_e32 v5, 0
	v_mov_b32_e32 v6, 0
	s_waitcnt vmcnt(0)
	v_cmp_lt_i64_e32 vcc, s[14:15], v[3:4]
	s_and_saveexec_b64 s[42:43], vcc
	s_cbranch_execz .LBB5_68
; %bb.63:
	v_mov_b32_e32 v5, s15
	v_subrev_co_u32_e32 v1, vcc, s14, v3
	v_subb_co_u32_e32 v7, vcc, v4, v5, vcc
	v_or_b32_e32 v6, s17, v7
	v_mov_b32_e32 v5, 0
	v_cmp_ne_u64_e32 vcc, 0, v[5:6]
                                        ; implicit-def: $vgpr5_vgpr6
	s_and_saveexec_b64 s[2:3], vcc
	s_xor_b64 s[44:45], exec, s[2:3]
	s_cbranch_execz .LBB5_65
; %bb.64:
	s_ashr_i32 s46, s17, 31
	s_add_u32 s2, s16, s46
	s_mov_b32 s47, s46
	s_addc_u32 s3, s17, s46
	s_xor_b64 s[48:49], s[2:3], s[46:47]
	v_cvt_f32_u32_e32 v5, s48
	v_cvt_f32_u32_e32 v6, s49
	s_sub_u32 s24, 0, s48
	s_subb_u32 s47, 0, s49
	v_ashrrev_i32_e32 v9, 31, v7
	v_madmk_f32 v5, v6, 0x4f800000, v5
	v_rcp_f32_e32 v5, v5
	v_add_co_u32_e32 v1, vcc, v1, v9
	v_xor_b32_e32 v1, v1, v9
	v_mul_f32_e32 v5, 0x5f7ffffc, v5
	v_mul_f32_e32 v6, 0x2f800000, v5
	v_trunc_f32_e32 v6, v6
	v_madmk_f32 v5, v6, 0xcf800000, v5
	v_cvt_u32_f32_e32 v6, v6
	v_cvt_u32_f32_e32 v5, v5
	v_addc_co_u32_e32 v7, vcc, v7, v9, vcc
	v_readfirstlane_b32 s52, v6
	v_readfirstlane_b32 s2, v5
	s_mul_i32 s3, s24, s52
	s_mul_hi_u32 s54, s24, s2
	s_mul_i32 s53, s47, s2
	s_add_i32 s3, s54, s3
	s_add_i32 s3, s3, s53
	s_mul_i32 s55, s24, s2
	s_mul_i32 s54, s2, s3
	s_mul_hi_u32 s56, s2, s55
	s_mul_hi_u32 s53, s2, s3
	s_add_u32 s54, s56, s54
	s_addc_u32 s53, 0, s53
	s_mul_hi_u32 s57, s52, s55
	s_mul_i32 s55, s52, s55
	s_add_u32 s54, s54, s55
	s_mul_hi_u32 s56, s52, s3
	s_addc_u32 s53, s53, s57
	s_addc_u32 s54, s56, 0
	s_mul_i32 s3, s52, s3
	s_add_u32 s3, s53, s3
	s_addc_u32 s53, 0, s54
	s_add_u32 s54, s2, s3
	s_cselect_b64 s[2:3], -1, 0
	s_cmp_lg_u64 s[2:3], 0
	s_addc_u32 s52, s52, s53
	s_mul_i32 s2, s24, s52
	s_mul_hi_u32 s3, s24, s54
	s_add_i32 s2, s3, s2
	s_mul_i32 s47, s47, s54
	s_add_i32 s2, s2, s47
	s_mul_i32 s24, s24, s54
	s_mul_hi_u32 s47, s52, s24
	s_mul_i32 s53, s52, s24
	s_mul_i32 s56, s54, s2
	s_mul_hi_u32 s24, s54, s24
	s_mul_hi_u32 s55, s54, s2
	s_add_u32 s24, s24, s56
	s_addc_u32 s55, 0, s55
	s_add_u32 s24, s24, s53
	s_mul_hi_u32 s3, s52, s2
	s_addc_u32 s24, s55, s47
	s_addc_u32 s3, s3, 0
	s_mul_i32 s2, s52, s2
	s_add_u32 s2, s24, s2
	s_addc_u32 s24, 0, s3
	s_add_u32 s47, s54, s2
	s_cselect_b64 s[2:3], -1, 0
	s_cmp_lg_u64 s[2:3], 0
	s_addc_u32 s24, s52, s24
	v_mad_u64_u32 v[5:6], s[2:3], v1, s24, 0
	v_mul_hi_u32 v8, v1, s47
	v_xor_b32_e32 v10, v7, v9
	v_add_co_u32_e32 v12, vcc, v8, v5
	v_addc_co_u32_e32 v13, vcc, 0, v6, vcc
	v_mad_u64_u32 v[5:6], s[2:3], v10, s47, 0
	v_mad_u64_u32 v[7:8], s[2:3], v10, s24, 0
	v_add_co_u32_e32 v5, vcc, v12, v5
	v_addc_co_u32_e32 v5, vcc, v13, v6, vcc
	v_addc_co_u32_e32 v6, vcc, 0, v8, vcc
	v_add_co_u32_e32 v7, vcc, v5, v7
	v_addc_co_u32_e32 v8, vcc, 0, v6, vcc
	v_mul_lo_u32 v12, s49, v7
	v_mul_lo_u32 v13, s48, v8
	v_mad_u64_u32 v[5:6], s[2:3], s48, v7, 0
	v_add3_u32 v6, v6, v13, v12
	v_sub_u32_e32 v12, v10, v6
	v_mov_b32_e32 v13, s49
	v_sub_co_u32_e32 v1, vcc, v1, v5
	v_subb_co_u32_e64 v5, s[2:3], v12, v13, vcc
	v_subrev_co_u32_e64 v12, s[2:3], s48, v1
	v_subbrev_co_u32_e64 v5, s[2:3], 0, v5, s[2:3]
	v_cmp_le_u32_e64 s[2:3], s49, v5
	v_cndmask_b32_e64 v13, 0, -1, s[2:3]
	v_cmp_le_u32_e64 s[2:3], s48, v12
	v_cndmask_b32_e64 v12, 0, -1, s[2:3]
	v_cmp_eq_u32_e64 s[2:3], s49, v5
	v_cndmask_b32_e64 v5, v13, v12, s[2:3]
	v_add_co_u32_e64 v12, s[2:3], 2, v7
	v_subb_co_u32_e32 v6, vcc, v10, v6, vcc
	v_addc_co_u32_e64 v13, s[2:3], 0, v8, s[2:3]
	v_cmp_le_u32_e32 vcc, s49, v6
	v_add_co_u32_e64 v14, s[2:3], 1, v7
	v_cndmask_b32_e64 v10, 0, -1, vcc
	v_cmp_le_u32_e32 vcc, s48, v1
	v_addc_co_u32_e64 v15, s[2:3], 0, v8, s[2:3]
	v_cndmask_b32_e64 v1, 0, -1, vcc
	v_cmp_eq_u32_e32 vcc, s49, v6
	v_cmp_ne_u32_e64 s[2:3], 0, v5
	v_cndmask_b32_e32 v1, v10, v1, vcc
	v_cndmask_b32_e64 v5, v15, v13, s[2:3]
	v_cmp_ne_u32_e32 vcc, 0, v1
	v_cndmask_b32_e32 v1, v8, v5, vcc
	v_cndmask_b32_e64 v5, v14, v12, s[2:3]
	v_cndmask_b32_e32 v5, v7, v5, vcc
	v_xor_b32_e32 v6, s46, v9
	v_xor_b32_e32 v5, v5, v6
	;; [unrolled: 1-line block ×3, first 2 shown]
	v_sub_co_u32_e32 v5, vcc, v5, v6
	v_subb_co_u32_e32 v6, vcc, v1, v6, vcc
                                        ; implicit-def: $vgpr1
.LBB5_65:
	s_andn2_saveexec_b64 s[2:3], s[44:45]
	s_cbranch_execz .LBB5_67
; %bb.66:
	v_cvt_f32_u32_e32 v5, s16
	s_sub_i32 s24, 0, s16
	v_rcp_iflag_f32_e32 v5, v5
	v_mul_f32_e32 v5, 0x4f7ffffe, v5
	v_cvt_u32_f32_e32 v5, v5
	v_mul_lo_u32 v6, s24, v5
	v_mul_hi_u32 v6, v5, v6
	v_add_u32_e32 v5, v5, v6
	v_mul_hi_u32 v5, v1, v5
	v_mul_lo_u32 v6, v5, s16
	v_add_u32_e32 v7, 1, v5
	v_sub_u32_e32 v1, v1, v6
	v_subrev_u32_e32 v6, s16, v1
	v_cmp_le_u32_e32 vcc, s16, v1
	v_cndmask_b32_e32 v1, v1, v6, vcc
	v_cndmask_b32_e32 v5, v5, v7, vcc
	v_add_u32_e32 v6, 1, v5
	v_cmp_le_u32_e32 vcc, s16, v1
	v_cndmask_b32_e32 v5, v5, v6, vcc
	v_mov_b32_e32 v6, 0
.LBB5_67:
	s_or_b64 exec, exec, s[2:3]
.LBB5_68:
	s_or_b64 exec, exec, s[42:43]
	v_or_b32_e32 v8, s17, v4
	v_mov_b32_e32 v7, 0
	v_cmp_ne_u64_e32 vcc, 0, v[7:8]
                                        ; implicit-def: $vgpr7_vgpr8
	s_and_saveexec_b64 s[2:3], vcc
	s_xor_b64 s[42:43], exec, s[2:3]
	s_cbranch_execz .LBB5_70
; %bb.69:
	s_ashr_i32 s44, s17, 31
	s_add_u32 s2, s16, s44
	s_mov_b32 s45, s44
	s_addc_u32 s3, s17, s44
	s_xor_b64 s[46:47], s[2:3], s[44:45]
	v_cvt_f32_u32_e32 v1, s46
	v_cvt_f32_u32_e32 v7, s47
	s_sub_u32 s24, 0, s46
	s_subb_u32 s45, 0, s47
	v_madmk_f32 v1, v7, 0x4f800000, v1
	v_rcp_f32_e32 v1, v1
	v_mul_f32_e32 v1, 0x5f7ffffc, v1
	v_mul_f32_e32 v7, 0x2f800000, v1
	v_trunc_f32_e32 v7, v7
	v_madmk_f32 v1, v7, 0xcf800000, v1
	v_cvt_u32_f32_e32 v7, v7
	v_cvt_u32_f32_e32 v1, v1
	v_readfirstlane_b32 s48, v7
	v_readfirstlane_b32 s2, v1
	s_mul_i32 s3, s24, s48
	s_mul_hi_u32 s52, s24, s2
	s_mul_i32 s49, s45, s2
	s_add_i32 s3, s52, s3
	s_add_i32 s3, s3, s49
	s_mul_i32 s53, s24, s2
	s_mul_i32 s52, s2, s3
	s_mul_hi_u32 s54, s2, s53
	s_mul_hi_u32 s49, s2, s3
	s_add_u32 s52, s54, s52
	s_addc_u32 s49, 0, s49
	s_mul_hi_u32 s55, s48, s53
	s_mul_i32 s53, s48, s53
	s_add_u32 s52, s52, s53
	s_mul_hi_u32 s54, s48, s3
	s_addc_u32 s49, s49, s55
	s_addc_u32 s52, s54, 0
	s_mul_i32 s3, s48, s3
	s_add_u32 s3, s49, s3
	s_addc_u32 s49, 0, s52
	s_add_u32 s52, s2, s3
	s_cselect_b64 s[2:3], -1, 0
	s_cmp_lg_u64 s[2:3], 0
	s_addc_u32 s48, s48, s49
	s_mul_i32 s2, s24, s48
	s_mul_hi_u32 s3, s24, s52
	s_add_i32 s2, s3, s2
	s_mul_i32 s45, s45, s52
	s_add_i32 s2, s2, s45
	s_mul_i32 s24, s24, s52
	s_mul_hi_u32 s45, s48, s24
	s_mul_i32 s49, s48, s24
	s_mul_i32 s54, s52, s2
	s_mul_hi_u32 s24, s52, s24
	s_mul_hi_u32 s53, s52, s2
	s_add_u32 s24, s24, s54
	s_addc_u32 s53, 0, s53
	s_add_u32 s24, s24, s49
	s_mul_hi_u32 s3, s48, s2
	s_addc_u32 s24, s53, s45
	s_addc_u32 s3, s3, 0
	s_mul_i32 s2, s48, s2
	s_add_u32 s2, s24, s2
	s_addc_u32 s24, 0, s3
	s_add_u32 s45, s52, s2
	s_cselect_b64 s[2:3], -1, 0
	v_ashrrev_i32_e32 v1, 31, v4
	s_cmp_lg_u64 s[2:3], 0
	v_add_co_u32_e32 v7, vcc, v3, v1
	s_addc_u32 s24, s48, s24
	v_xor_b32_e32 v12, v7, v1
	v_mad_u64_u32 v[7:8], s[2:3], v12, s24, 0
	v_mul_hi_u32 v10, v12, s45
	v_addc_co_u32_e32 v9, vcc, v4, v1, vcc
	v_xor_b32_e32 v13, v9, v1
	v_add_co_u32_e32 v14, vcc, v10, v7
	v_addc_co_u32_e32 v15, vcc, 0, v8, vcc
	v_mad_u64_u32 v[7:8], s[2:3], v13, s45, 0
	v_mad_u64_u32 v[9:10], s[2:3], v13, s24, 0
	v_add_co_u32_e32 v7, vcc, v14, v7
	v_addc_co_u32_e32 v7, vcc, v15, v8, vcc
	v_addc_co_u32_e32 v8, vcc, 0, v10, vcc
	v_add_co_u32_e32 v9, vcc, v7, v9
	v_addc_co_u32_e32 v10, vcc, 0, v8, vcc
	v_mul_lo_u32 v14, s47, v9
	v_mul_lo_u32 v15, s46, v10
	v_mad_u64_u32 v[7:8], s[2:3], s46, v9, 0
	v_xor_b32_e32 v1, s44, v1
	v_add3_u32 v8, v8, v15, v14
	v_sub_u32_e32 v14, v13, v8
	v_mov_b32_e32 v15, s47
	v_sub_co_u32_e32 v7, vcc, v12, v7
	v_subb_co_u32_e64 v12, s[2:3], v14, v15, vcc
	v_subrev_co_u32_e64 v14, s[2:3], s46, v7
	v_subbrev_co_u32_e64 v12, s[2:3], 0, v12, s[2:3]
	v_cmp_le_u32_e64 s[2:3], s47, v12
	v_cndmask_b32_e64 v15, 0, -1, s[2:3]
	v_cmp_le_u32_e64 s[2:3], s46, v14
	v_cndmask_b32_e64 v14, 0, -1, s[2:3]
	v_cmp_eq_u32_e64 s[2:3], s47, v12
	v_cndmask_b32_e64 v12, v15, v14, s[2:3]
	v_add_co_u32_e64 v14, s[2:3], 2, v9
	v_subb_co_u32_e32 v8, vcc, v13, v8, vcc
	v_addc_co_u32_e64 v15, s[2:3], 0, v10, s[2:3]
	v_cmp_le_u32_e32 vcc, s47, v8
	v_add_co_u32_e64 v16, s[2:3], 1, v9
	v_cndmask_b32_e64 v13, 0, -1, vcc
	v_cmp_le_u32_e32 vcc, s46, v7
	v_addc_co_u32_e64 v17, s[2:3], 0, v10, s[2:3]
	v_cndmask_b32_e64 v7, 0, -1, vcc
	v_cmp_eq_u32_e32 vcc, s47, v8
	v_cmp_ne_u32_e64 s[2:3], 0, v12
	v_cndmask_b32_e32 v7, v13, v7, vcc
	v_cndmask_b32_e64 v12, v17, v15, s[2:3]
	v_cmp_ne_u32_e32 vcc, 0, v7
	v_cndmask_b32_e64 v8, v16, v14, s[2:3]
	v_cndmask_b32_e32 v7, v10, v12, vcc
	v_cndmask_b32_e32 v8, v9, v8, vcc
	v_xor_b32_e32 v9, v7, v1
	v_xor_b32_e32 v7, v8, v1
	v_sub_co_u32_e32 v7, vcc, v7, v1
	v_subb_co_u32_e32 v8, vcc, v9, v1, vcc
.LBB5_70:
	s_andn2_saveexec_b64 s[2:3], s[42:43]
	s_cbranch_execz .LBB5_72
; %bb.71:
	v_cvt_f32_u32_e32 v1, s16
	s_sub_i32 s24, 0, s16
	v_rcp_iflag_f32_e32 v1, v1
	v_mul_f32_e32 v1, 0x4f7ffffe, v1
	v_cvt_u32_f32_e32 v1, v1
	v_mul_lo_u32 v7, s24, v1
	v_mul_hi_u32 v7, v1, v7
	v_add_u32_e32 v1, v1, v7
	v_mul_hi_u32 v1, v3, v1
	v_mul_lo_u32 v7, v1, s16
	v_add_u32_e32 v8, 1, v1
	v_sub_u32_e32 v7, v3, v7
	v_subrev_u32_e32 v9, s16, v7
	v_cmp_le_u32_e32 vcc, s16, v7
	v_cndmask_b32_e32 v7, v7, v9, vcc
	v_cndmask_b32_e32 v1, v1, v8, vcc
	v_add_u32_e32 v8, 1, v1
	v_cmp_le_u32_e32 vcc, s16, v7
	v_cndmask_b32_e32 v7, v1, v8, vcc
	v_mov_b32_e32 v8, 0
.LBB5_72:
	s_or_b64 exec, exec, s[2:3]
	v_mul_lo_u32 v1, v6, s16
	v_mul_lo_u32 v12, v5, s17
	v_mad_u64_u32 v[9:10], s[2:3], v5, s16, 0
	v_add3_u32 v10, v10, v12, v1
	v_cmp_gt_i64_e32 vcc, v[9:10], v[3:4]
	v_mov_b32_e32 v1, s15
	v_add_co_u32_e64 v9, s[2:3], s14, v9
	v_addc_co_u32_e64 v10, s[2:3], v10, v1, s[2:3]
	v_cmp_ge_i64_e64 s[2:3], v[3:4], v[9:10]
	s_or_b64 s[2:3], vcc, s[2:3]
	v_cndmask_b32_e64 v1, 0, 1, s[2:3]
	v_add_co_u32_e32 v9, vcc, v5, v1
	v_addc_co_u32_e32 v10, vcc, 0, v6, vcc
	v_cmp_gt_i64_e32 vcc, s[4:5], v[7:8]
	v_mov_b32_e32 v1, s5
	v_cndmask_b32_e32 v6, v1, v8, vcc
	v_mov_b32_e32 v1, s4
	v_cndmask_b32_e32 v5, v1, v7, vcc
	v_cmp_le_i64_e32 vcc, v[9:10], v[5:6]
	s_and_saveexec_b64 s[42:43], vcc
	s_cbranch_execz .LBB5_75
; %bb.73:
	global_load_dwordx2 v[7:8], v2, s[8:9]
	v_mul_lo_u32 v15, s17, v9
	v_mul_lo_u32 v16, s16, v10
	v_mad_u64_u32 v[12:13], s[2:3], s16, v9, 0
	v_mov_b32_e32 v14, s9
	v_add_co_u32_e32 v1, vcc, s8, v2
	v_addc_co_u32_e32 v2, vcc, 0, v14, vcc
	v_add3_u32 v13, v13, v16, v15
	v_sub_co_u32_e32 v3, vcc, v3, v12
	v_subb_co_u32_e32 v4, vcc, v4, v13, vcc
	v_mul_lo_u32 v16, s23, v3
	v_mul_lo_u32 v17, s22, v4
	v_mad_u64_u32 v[12:13], s[2:3], s22, v3, 0
	v_mul_lo_u32 v18, s21, v9
	v_mul_lo_u32 v19, s20, v10
	v_mad_u64_u32 v[14:15], s[2:3], s20, v9, 0
	v_add_co_u32_e32 v3, vcc, -1, v9
	v_add3_u32 v13, v13, v17, v16
	v_add3_u32 v15, v15, v19, v18
	v_addc_co_u32_e32 v4, vcc, -1, v10, vcc
	v_lshlrev_b64 v[9:10], 3, v[12:13]
	v_lshlrev_b64 v[12:13], 3, v[14:15]
	s_mul_i32 s24, s16, s23
	v_add_co_u32_e32 v9, vcc, v9, v12
	s_mul_hi_u32 s44, s16, s22
	v_addc_co_u32_e32 v10, vcc, v10, v13, vcc
	s_add_i32 s24, s44, s24
	s_mul_i32 s44, s17, s22
	v_add_co_u32_e32 v0, vcc, v9, v0
	s_add_i32 s45, s24, s44
	s_mul_i32 s44, s16, s22
	v_addc_co_u32_e32 v10, vcc, 0, v10, vcc
	s_lshl_b64 s[2:3], s[20:21], 3
	s_lshl_b64 s[44:45], s[44:45], 3
	v_mov_b32_e32 v12, s11
	v_add_co_u32_e32 v9, vcc, s10, v0
	s_sub_u32 s24, s2, s44
	v_addc_co_u32_e32 v10, vcc, v12, v10, vcc
	s_subb_u32 s46, s3, s45
	s_mov_b64 s[44:45], 0
.LBB5_74:                               ; =>This Inner Loop Header: Depth=1
	global_load_dwordx2 v[12:13], v[9:10], off
	v_add_co_u32_e32 v3, vcc, 1, v3
	v_addc_co_u32_e32 v4, vcc, 0, v4, vcc
	v_cmp_ge_i64_e64 s[2:3], v[3:4], v[5:6]
	v_mov_b32_e32 v0, s46
	v_add_co_u32_e32 v9, vcc, s24, v9
	v_addc_co_u32_e32 v10, vcc, v10, v0, vcc
	s_or_b64 s[44:45], s[2:3], s[44:45]
	s_waitcnt vmcnt(0)
	v_add_f64 v[7:8], v[7:8], v[12:13]
	global_store_dwordx2 v[1:2], v[7:8], off
	s_andn2_b64 exec, exec, s[44:45]
	s_cbranch_execnz .LBB5_74
.LBB5_75:
	s_or_b64 exec, exec, s[42:43]
	v_add_u32_e32 v11, 0x100, v11
	s_or_b64 exec, exec, s[18:19]
	v_cmp_gt_i32_e32 vcc, s51, v11
	s_and_saveexec_b64 s[2:3], vcc
	s_cbranch_execz .LBB5_99
.LBB5_76:
	s_and_b64 vcc, exec, s[0:1]
	s_cbranch_vccnz .LBB5_83
; %bb.77:
	v_mov_b32_e32 v2, 0
	s_andn2_b64 vcc, exec, s[40:41]
	v_mov_b32_e32 v0, 0
	v_mov_b32_e32 v4, 0
	s_cbranch_vccnz .LBB5_82
; %bb.78:
	s_add_i32 s0, s31, 1
	s_and_b32 s2, s0, 30
	s_add_u32 s0, s33, 0xffffffe8
	s_addc_u32 s1, s50, -1
	v_mov_b32_e32 v4, 0
	v_mov_b32_e32 v0, 0
	;; [unrolled: 1-line block ×4, first 2 shown]
.LBB5_79:                               ; =>This Inner Loop Header: Depth=1
	s_load_dwordx4 s[40:43], s[0:1], 0x1c
	s_load_dwordx2 s[18:19], s[0:1], 0x2c
	s_load_dwordx2 s[48:49], s[0:1], 0xec
	s_load_dwordx4 s[44:47], s[0:1], 0xdc
	s_add_u32 s0, s0, 24
	s_waitcnt lgkmcnt(0)
	v_mul_hi_u32 v3, s41, v1
	s_addc_u32 s1, s1, 0
	s_add_i32 s2, s2, -2
	s_cmp_eq_u32 s2, 0
	v_add_u32_e32 v3, v1, v3
	v_lshrrev_b32_e32 v3, s42, v3
	v_mul_lo_u32 v5, v3, s40
	v_mul_hi_u32 v6, s18, v3
	v_sub_u32_e32 v5, v1, v5
	v_add_u32_e32 v1, v3, v6
	v_lshrrev_b32_e32 v1, s19, v1
	v_mul_lo_u32 v8, v1, s43
	v_mul_lo_u32 v6, v5, s44
	;; [unrolled: 1-line block ×4, first 2 shown]
	v_sub_u32_e32 v3, v3, v8
	v_mul_lo_u32 v8, v3, s47
	v_mul_lo_u32 v9, v3, s48
	v_mul_lo_u32 v3, v3, s49
	v_add3_u32 v2, v6, v2, v8
	v_add3_u32 v0, v7, v0, v9
	;; [unrolled: 1-line block ×3, first 2 shown]
	s_cbranch_scc0 .LBB5_79
; %bb.80:
	s_bitcmp1_b32 s31, 0
	s_cselect_b64 s[2:3], -1, 0
	s_and_b64 vcc, exec, s[2:3]
	s_cbranch_vccnz .LBB5_82
; %bb.81:
	s_load_dwordx2 s[2:3], s[0:1], 0x1c
	s_load_dword s24, s[0:1], 0x24
	s_load_dwordx2 s[18:19], s[0:1], 0xdc
	s_waitcnt lgkmcnt(0)
	v_mul_hi_u32 v3, s3, v1
	v_add_u32_e32 v3, v1, v3
	v_lshrrev_b32_e32 v3, s24, v3
	v_mul_lo_u32 v3, v3, s2
	s_load_dword s2, s[0:1], 0xe4
	v_sub_u32_e32 v5, v1, v3
	v_mad_u64_u32 v[2:3], s[0:1], v5, s18, v[2:3]
	v_mad_u64_u32 v[0:1], s[0:1], v5, s19, v[0:1]
	s_waitcnt lgkmcnt(0)
	v_mad_u64_u32 v[4:5], s[0:1], v5, s2, v[4:5]
.LBB5_82:
	s_cbranch_execz .LBB5_84
	s_branch .LBB5_86
.LBB5_83:
                                        ; implicit-def: $vgpr2
                                        ; implicit-def: $vgpr0
                                        ; implicit-def: $vgpr4
.LBB5_84:
	v_mul_hi_u32 v0, s26, v11
	s_andn2_b64 vcc, exec, s[34:35]
	v_add_u32_e32 v0, v11, v0
	v_lshrrev_b32_e32 v1, s27, v0
	v_mul_lo_u32 v0, v1, s25
	v_sub_u32_e32 v3, v11, v0
	v_mul_lo_u32 v2, v3, s36
	v_mul_lo_u32 v0, v3, s37
	;; [unrolled: 1-line block ×3, first 2 shown]
	s_cbranch_vccnz .LBB5_86
; %bb.85:
	v_mul_hi_u32 v3, s29, v1
	v_add_u32_e32 v3, v1, v3
	v_lshrrev_b32_e32 v3, s30, v3
	v_mul_lo_u32 v3, v3, s28
	v_sub_u32_e32 v5, v1, v3
	v_mad_u64_u32 v[2:3], s[0:1], v5, s39, v[2:3]
	v_mad_u64_u32 v[0:1], s[0:1], v5, s6, v[0:1]
	v_mad_u64_u32 v[4:5], s[0:1], v5, s7, v[4:5]
.LBB5_86:
	global_load_dwordx2 v[3:4], v4, s[12:13]
	v_mov_b32_e32 v5, 0
	v_mov_b32_e32 v6, 0
	s_waitcnt vmcnt(0)
	v_cmp_lt_i64_e32 vcc, s[14:15], v[3:4]
	s_and_saveexec_b64 s[2:3], vcc
	s_cbranch_execz .LBB5_92
; %bb.87:
	v_mov_b32_e32 v5, s15
	v_subrev_co_u32_e32 v1, vcc, s14, v3
	v_subb_co_u32_e32 v7, vcc, v4, v5, vcc
	v_or_b32_e32 v6, s17, v7
	v_mov_b32_e32 v5, 0
	v_cmp_ne_u64_e32 vcc, 0, v[5:6]
                                        ; implicit-def: $vgpr5_vgpr6
	s_and_saveexec_b64 s[0:1], vcc
	s_xor_b64 s[6:7], exec, s[0:1]
	s_cbranch_execz .LBB5_89
; %bb.88:
	s_ashr_i32 s12, s17, 31
	s_add_u32 s0, s16, s12
	s_mov_b32 s13, s12
	s_addc_u32 s1, s17, s12
	s_xor_b64 s[18:19], s[0:1], s[12:13]
	v_cvt_f32_u32_e32 v5, s18
	v_cvt_f32_u32_e32 v6, s19
	s_sub_u32 s13, 0, s18
	s_subb_u32 s24, 0, s19
	v_ashrrev_i32_e32 v9, 31, v7
	v_madmk_f32 v5, v6, 0x4f800000, v5
	v_rcp_f32_e32 v5, v5
	v_add_co_u32_e32 v1, vcc, v1, v9
	v_xor_b32_e32 v1, v1, v9
	v_mul_f32_e32 v5, 0x5f7ffffc, v5
	v_mul_f32_e32 v6, 0x2f800000, v5
	v_trunc_f32_e32 v6, v6
	v_madmk_f32 v5, v6, 0xcf800000, v5
	v_cvt_u32_f32_e32 v6, v6
	v_cvt_u32_f32_e32 v5, v5
	v_addc_co_u32_e32 v7, vcc, v7, v9, vcc
	v_readfirstlane_b32 s25, v6
	v_readfirstlane_b32 s0, v5
	s_mul_i32 s1, s13, s25
	s_mul_hi_u32 s27, s13, s0
	s_mul_i32 s26, s24, s0
	s_add_i32 s1, s27, s1
	s_add_i32 s1, s1, s26
	s_mul_i32 s28, s13, s0
	s_mul_i32 s27, s0, s1
	s_mul_hi_u32 s29, s0, s28
	s_mul_hi_u32 s26, s0, s1
	s_add_u32 s27, s29, s27
	s_addc_u32 s26, 0, s26
	s_mul_hi_u32 s30, s25, s28
	s_mul_i32 s28, s25, s28
	s_add_u32 s27, s27, s28
	s_mul_hi_u32 s29, s25, s1
	s_addc_u32 s26, s26, s30
	s_addc_u32 s27, s29, 0
	s_mul_i32 s1, s25, s1
	s_add_u32 s1, s26, s1
	s_addc_u32 s26, 0, s27
	s_add_u32 s27, s0, s1
	s_cselect_b64 s[0:1], -1, 0
	s_cmp_lg_u64 s[0:1], 0
	s_addc_u32 s25, s25, s26
	s_mul_i32 s0, s13, s25
	s_mul_hi_u32 s1, s13, s27
	s_add_i32 s0, s1, s0
	s_mul_i32 s24, s24, s27
	s_add_i32 s0, s0, s24
	s_mul_i32 s13, s13, s27
	s_mul_hi_u32 s24, s25, s13
	s_mul_i32 s26, s25, s13
	s_mul_i32 s29, s27, s0
	s_mul_hi_u32 s13, s27, s13
	s_mul_hi_u32 s28, s27, s0
	s_add_u32 s13, s13, s29
	s_addc_u32 s28, 0, s28
	s_add_u32 s13, s13, s26
	s_mul_hi_u32 s1, s25, s0
	s_addc_u32 s13, s28, s24
	s_addc_u32 s1, s1, 0
	s_mul_i32 s0, s25, s0
	s_add_u32 s0, s13, s0
	s_addc_u32 s13, 0, s1
	s_add_u32 s24, s27, s0
	s_cselect_b64 s[0:1], -1, 0
	s_cmp_lg_u64 s[0:1], 0
	s_addc_u32 s13, s25, s13
	v_mad_u64_u32 v[5:6], s[0:1], v1, s13, 0
	v_mul_hi_u32 v8, v1, s24
	v_xor_b32_e32 v10, v7, v9
	v_add_co_u32_e32 v11, vcc, v8, v5
	v_addc_co_u32_e32 v12, vcc, 0, v6, vcc
	v_mad_u64_u32 v[5:6], s[0:1], v10, s24, 0
	v_mad_u64_u32 v[7:8], s[0:1], v10, s13, 0
	v_add_co_u32_e32 v5, vcc, v11, v5
	v_addc_co_u32_e32 v5, vcc, v12, v6, vcc
	v_addc_co_u32_e32 v6, vcc, 0, v8, vcc
	v_add_co_u32_e32 v7, vcc, v5, v7
	v_addc_co_u32_e32 v8, vcc, 0, v6, vcc
	v_mul_lo_u32 v11, s19, v7
	v_mul_lo_u32 v12, s18, v8
	v_mad_u64_u32 v[5:6], s[0:1], s18, v7, 0
	v_add3_u32 v6, v6, v12, v11
	v_sub_u32_e32 v11, v10, v6
	v_mov_b32_e32 v12, s19
	v_sub_co_u32_e32 v1, vcc, v1, v5
	v_subb_co_u32_e64 v5, s[0:1], v11, v12, vcc
	v_subrev_co_u32_e64 v11, s[0:1], s18, v1
	v_subbrev_co_u32_e64 v5, s[0:1], 0, v5, s[0:1]
	v_cmp_le_u32_e64 s[0:1], s19, v5
	v_cndmask_b32_e64 v12, 0, -1, s[0:1]
	v_cmp_le_u32_e64 s[0:1], s18, v11
	v_cndmask_b32_e64 v11, 0, -1, s[0:1]
	v_cmp_eq_u32_e64 s[0:1], s19, v5
	v_cndmask_b32_e64 v5, v12, v11, s[0:1]
	v_add_co_u32_e64 v11, s[0:1], 2, v7
	v_subb_co_u32_e32 v6, vcc, v10, v6, vcc
	v_addc_co_u32_e64 v12, s[0:1], 0, v8, s[0:1]
	v_cmp_le_u32_e32 vcc, s19, v6
	v_add_co_u32_e64 v13, s[0:1], 1, v7
	v_cndmask_b32_e64 v10, 0, -1, vcc
	v_cmp_le_u32_e32 vcc, s18, v1
	v_addc_co_u32_e64 v14, s[0:1], 0, v8, s[0:1]
	v_cndmask_b32_e64 v1, 0, -1, vcc
	v_cmp_eq_u32_e32 vcc, s19, v6
	v_cmp_ne_u32_e64 s[0:1], 0, v5
	v_cndmask_b32_e32 v1, v10, v1, vcc
	v_cndmask_b32_e64 v5, v14, v12, s[0:1]
	v_cmp_ne_u32_e32 vcc, 0, v1
	v_cndmask_b32_e32 v1, v8, v5, vcc
	v_cndmask_b32_e64 v5, v13, v11, s[0:1]
	v_cndmask_b32_e32 v5, v7, v5, vcc
	v_xor_b32_e32 v6, s12, v9
	v_xor_b32_e32 v5, v5, v6
	;; [unrolled: 1-line block ×3, first 2 shown]
	v_sub_co_u32_e32 v5, vcc, v5, v6
	v_subb_co_u32_e32 v6, vcc, v1, v6, vcc
                                        ; implicit-def: $vgpr1
.LBB5_89:
	s_andn2_saveexec_b64 s[0:1], s[6:7]
	s_cbranch_execz .LBB5_91
; %bb.90:
	v_cvt_f32_u32_e32 v5, s16
	s_sub_i32 s6, 0, s16
	v_rcp_iflag_f32_e32 v5, v5
	v_mul_f32_e32 v5, 0x4f7ffffe, v5
	v_cvt_u32_f32_e32 v5, v5
	v_mul_lo_u32 v6, s6, v5
	v_mul_hi_u32 v6, v5, v6
	v_add_u32_e32 v5, v5, v6
	v_mul_hi_u32 v5, v1, v5
	v_mul_lo_u32 v6, v5, s16
	v_add_u32_e32 v7, 1, v5
	v_sub_u32_e32 v1, v1, v6
	v_subrev_u32_e32 v6, s16, v1
	v_cmp_le_u32_e32 vcc, s16, v1
	v_cndmask_b32_e32 v1, v1, v6, vcc
	v_cndmask_b32_e32 v5, v5, v7, vcc
	v_add_u32_e32 v6, 1, v5
	v_cmp_le_u32_e32 vcc, s16, v1
	v_cndmask_b32_e32 v5, v5, v6, vcc
	v_mov_b32_e32 v6, 0
.LBB5_91:
	s_or_b64 exec, exec, s[0:1]
.LBB5_92:
	s_or_b64 exec, exec, s[2:3]
	v_or_b32_e32 v8, s17, v4
	v_mov_b32_e32 v7, 0
	v_cmp_ne_u64_e32 vcc, 0, v[7:8]
                                        ; implicit-def: $vgpr7_vgpr8
	s_and_saveexec_b64 s[0:1], vcc
	s_xor_b64 s[2:3], exec, s[0:1]
	s_cbranch_execz .LBB5_94
; %bb.93:
	s_ashr_i32 s6, s17, 31
	s_add_u32 s0, s16, s6
	s_mov_b32 s7, s6
	s_addc_u32 s1, s17, s6
	s_xor_b64 s[12:13], s[0:1], s[6:7]
	v_cvt_f32_u32_e32 v1, s12
	v_cvt_f32_u32_e32 v7, s13
	s_sub_u32 s7, 0, s12
	s_subb_u32 s18, 0, s13
	v_madmk_f32 v1, v7, 0x4f800000, v1
	v_rcp_f32_e32 v1, v1
	v_mul_f32_e32 v1, 0x5f7ffffc, v1
	v_mul_f32_e32 v7, 0x2f800000, v1
	v_trunc_f32_e32 v7, v7
	v_madmk_f32 v1, v7, 0xcf800000, v1
	v_cvt_u32_f32_e32 v7, v7
	v_cvt_u32_f32_e32 v1, v1
	v_readfirstlane_b32 s19, v7
	v_readfirstlane_b32 s0, v1
	s_mul_i32 s1, s7, s19
	s_mul_hi_u32 s25, s7, s0
	s_mul_i32 s24, s18, s0
	s_add_i32 s1, s25, s1
	s_add_i32 s1, s1, s24
	s_mul_i32 s26, s7, s0
	s_mul_i32 s25, s0, s1
	s_mul_hi_u32 s27, s0, s26
	s_mul_hi_u32 s24, s0, s1
	s_add_u32 s25, s27, s25
	s_addc_u32 s24, 0, s24
	s_mul_hi_u32 s28, s19, s26
	s_mul_i32 s26, s19, s26
	s_add_u32 s25, s25, s26
	s_mul_hi_u32 s27, s19, s1
	s_addc_u32 s24, s24, s28
	s_addc_u32 s25, s27, 0
	s_mul_i32 s1, s19, s1
	s_add_u32 s1, s24, s1
	s_addc_u32 s24, 0, s25
	s_add_u32 s25, s0, s1
	s_cselect_b64 s[0:1], -1, 0
	s_cmp_lg_u64 s[0:1], 0
	s_addc_u32 s19, s19, s24
	s_mul_i32 s0, s7, s19
	s_mul_hi_u32 s1, s7, s25
	s_add_i32 s0, s1, s0
	s_mul_i32 s18, s18, s25
	s_add_i32 s0, s0, s18
	s_mul_i32 s7, s7, s25
	s_mul_hi_u32 s18, s19, s7
	s_mul_i32 s24, s19, s7
	s_mul_i32 s27, s25, s0
	s_mul_hi_u32 s7, s25, s7
	s_mul_hi_u32 s26, s25, s0
	s_add_u32 s7, s7, s27
	s_addc_u32 s26, 0, s26
	s_add_u32 s7, s7, s24
	s_mul_hi_u32 s1, s19, s0
	s_addc_u32 s7, s26, s18
	s_addc_u32 s1, s1, 0
	s_mul_i32 s0, s19, s0
	s_add_u32 s0, s7, s0
	s_addc_u32 s7, 0, s1
	s_add_u32 s18, s25, s0
	s_cselect_b64 s[0:1], -1, 0
	v_ashrrev_i32_e32 v1, 31, v4
	s_cmp_lg_u64 s[0:1], 0
	v_add_co_u32_e32 v7, vcc, v3, v1
	s_addc_u32 s7, s19, s7
	v_xor_b32_e32 v11, v7, v1
	v_mad_u64_u32 v[7:8], s[0:1], v11, s7, 0
	v_mul_hi_u32 v10, v11, s18
	v_addc_co_u32_e32 v9, vcc, v4, v1, vcc
	v_xor_b32_e32 v12, v9, v1
	v_add_co_u32_e32 v13, vcc, v10, v7
	v_addc_co_u32_e32 v14, vcc, 0, v8, vcc
	v_mad_u64_u32 v[7:8], s[0:1], v12, s18, 0
	v_mad_u64_u32 v[9:10], s[0:1], v12, s7, 0
	v_add_co_u32_e32 v7, vcc, v13, v7
	v_addc_co_u32_e32 v7, vcc, v14, v8, vcc
	v_addc_co_u32_e32 v8, vcc, 0, v10, vcc
	v_add_co_u32_e32 v9, vcc, v7, v9
	v_addc_co_u32_e32 v10, vcc, 0, v8, vcc
	v_mul_lo_u32 v13, s13, v9
	v_mul_lo_u32 v14, s12, v10
	v_mad_u64_u32 v[7:8], s[0:1], s12, v9, 0
	v_xor_b32_e32 v1, s6, v1
	v_add3_u32 v8, v8, v14, v13
	v_sub_u32_e32 v13, v12, v8
	v_mov_b32_e32 v14, s13
	v_sub_co_u32_e32 v7, vcc, v11, v7
	v_subb_co_u32_e64 v11, s[0:1], v13, v14, vcc
	v_subrev_co_u32_e64 v13, s[0:1], s12, v7
	v_subbrev_co_u32_e64 v11, s[0:1], 0, v11, s[0:1]
	v_cmp_le_u32_e64 s[0:1], s13, v11
	v_cndmask_b32_e64 v14, 0, -1, s[0:1]
	v_cmp_le_u32_e64 s[0:1], s12, v13
	v_cndmask_b32_e64 v13, 0, -1, s[0:1]
	v_cmp_eq_u32_e64 s[0:1], s13, v11
	v_cndmask_b32_e64 v11, v14, v13, s[0:1]
	v_add_co_u32_e64 v13, s[0:1], 2, v9
	v_subb_co_u32_e32 v8, vcc, v12, v8, vcc
	v_addc_co_u32_e64 v14, s[0:1], 0, v10, s[0:1]
	v_cmp_le_u32_e32 vcc, s13, v8
	v_add_co_u32_e64 v15, s[0:1], 1, v9
	v_cndmask_b32_e64 v12, 0, -1, vcc
	v_cmp_le_u32_e32 vcc, s12, v7
	v_addc_co_u32_e64 v16, s[0:1], 0, v10, s[0:1]
	v_cndmask_b32_e64 v7, 0, -1, vcc
	v_cmp_eq_u32_e32 vcc, s13, v8
	v_cmp_ne_u32_e64 s[0:1], 0, v11
	v_cndmask_b32_e32 v7, v12, v7, vcc
	v_cndmask_b32_e64 v11, v16, v14, s[0:1]
	v_cmp_ne_u32_e32 vcc, 0, v7
	v_cndmask_b32_e64 v8, v15, v13, s[0:1]
	v_cndmask_b32_e32 v7, v10, v11, vcc
	v_cndmask_b32_e32 v8, v9, v8, vcc
	v_xor_b32_e32 v9, v7, v1
	v_xor_b32_e32 v7, v8, v1
	v_sub_co_u32_e32 v7, vcc, v7, v1
	v_subb_co_u32_e32 v8, vcc, v9, v1, vcc
.LBB5_94:
	s_andn2_saveexec_b64 s[0:1], s[2:3]
	s_cbranch_execz .LBB5_96
; %bb.95:
	v_cvt_f32_u32_e32 v1, s16
	s_sub_i32 s2, 0, s16
	v_rcp_iflag_f32_e32 v1, v1
	v_mul_f32_e32 v1, 0x4f7ffffe, v1
	v_cvt_u32_f32_e32 v1, v1
	v_mul_lo_u32 v7, s2, v1
	v_mul_hi_u32 v7, v1, v7
	v_add_u32_e32 v1, v1, v7
	v_mul_hi_u32 v1, v3, v1
	v_mul_lo_u32 v7, v1, s16
	v_add_u32_e32 v8, 1, v1
	v_sub_u32_e32 v7, v3, v7
	v_subrev_u32_e32 v9, s16, v7
	v_cmp_le_u32_e32 vcc, s16, v7
	v_cndmask_b32_e32 v7, v7, v9, vcc
	v_cndmask_b32_e32 v1, v1, v8, vcc
	v_add_u32_e32 v8, 1, v1
	v_cmp_le_u32_e32 vcc, s16, v7
	v_cndmask_b32_e32 v7, v1, v8, vcc
	v_mov_b32_e32 v8, 0
.LBB5_96:
	s_or_b64 exec, exec, s[0:1]
	v_mul_lo_u32 v1, v6, s16
	v_mul_lo_u32 v11, v5, s17
	v_mad_u64_u32 v[9:10], s[0:1], v5, s16, 0
	v_add3_u32 v10, v10, v11, v1
	v_cmp_gt_i64_e32 vcc, v[9:10], v[3:4]
	v_mov_b32_e32 v1, s15
	v_add_co_u32_e64 v9, s[0:1], s14, v9
	v_addc_co_u32_e64 v10, s[0:1], v10, v1, s[0:1]
	v_cmp_ge_i64_e64 s[0:1], v[3:4], v[9:10]
	s_or_b64 s[0:1], vcc, s[0:1]
	v_cndmask_b32_e64 v1, 0, 1, s[0:1]
	v_add_co_u32_e32 v9, vcc, v5, v1
	v_addc_co_u32_e32 v10, vcc, 0, v6, vcc
	v_cmp_gt_i64_e32 vcc, s[4:5], v[7:8]
	v_mov_b32_e32 v1, s5
	v_cndmask_b32_e32 v6, v1, v8, vcc
	v_mov_b32_e32 v1, s4
	v_cndmask_b32_e32 v5, v1, v7, vcc
	v_cmp_le_i64_e32 vcc, v[9:10], v[5:6]
	s_and_b64 exec, exec, vcc
	s_cbranch_execz .LBB5_99
; %bb.97:
	global_load_dwordx2 v[7:8], v2, s[8:9]
	v_mul_lo_u32 v14, s17, v9
	v_mul_lo_u32 v15, s16, v10
	v_mad_u64_u32 v[11:12], s[0:1], s16, v9, 0
	v_mov_b32_e32 v13, s9
	v_add_co_u32_e32 v1, vcc, s8, v2
	v_addc_co_u32_e32 v2, vcc, 0, v13, vcc
	v_add3_u32 v12, v12, v15, v14
	v_sub_co_u32_e32 v3, vcc, v3, v11
	v_subb_co_u32_e32 v4, vcc, v4, v12, vcc
	v_mul_lo_u32 v15, s23, v3
	v_mul_lo_u32 v16, s22, v4
	v_mad_u64_u32 v[11:12], s[0:1], s22, v3, 0
	v_mul_lo_u32 v17, s21, v9
	v_mul_lo_u32 v18, s20, v10
	v_mad_u64_u32 v[13:14], s[0:1], s20, v9, 0
	v_add_co_u32_e32 v3, vcc, -1, v9
	v_add3_u32 v12, v12, v16, v15
	v_add3_u32 v14, v14, v18, v17
	v_addc_co_u32_e32 v4, vcc, -1, v10, vcc
	v_lshlrev_b64 v[9:10], 3, v[11:12]
	v_lshlrev_b64 v[11:12], 3, v[13:14]
	s_mul_i32 s2, s16, s23
	v_add_co_u32_e32 v9, vcc, v9, v11
	s_mul_hi_u32 s3, s16, s22
	v_addc_co_u32_e32 v10, vcc, v10, v12, vcc
	s_add_i32 s2, s3, s2
	s_mul_i32 s3, s17, s22
	v_add_co_u32_e32 v0, vcc, v9, v0
	s_add_i32 s3, s2, s3
	s_mul_i32 s2, s16, s22
	v_addc_co_u32_e32 v10, vcc, 0, v10, vcc
	s_lshl_b64 s[0:1], s[20:21], 3
	s_lshl_b64 s[2:3], s[2:3], 3
	v_mov_b32_e32 v11, s11
	v_add_co_u32_e32 v9, vcc, s10, v0
	s_sub_u32 s4, s0, s2
	v_addc_co_u32_e32 v10, vcc, v11, v10, vcc
	s_subb_u32 s5, s1, s3
	s_mov_b64 s[2:3], 0
.LBB5_98:                               ; =>This Inner Loop Header: Depth=1
	global_load_dwordx2 v[11:12], v[9:10], off
	v_add_co_u32_e32 v3, vcc, 1, v3
	v_addc_co_u32_e32 v4, vcc, 0, v4, vcc
	v_cmp_ge_i64_e64 s[0:1], v[3:4], v[5:6]
	v_mov_b32_e32 v0, s5
	v_add_co_u32_e32 v9, vcc, s4, v9
	v_addc_co_u32_e32 v10, vcc, v10, v0, vcc
	s_or_b64 s[2:3], s[0:1], s[2:3]
	s_waitcnt vmcnt(0)
	v_add_f64 v[7:8], v[7:8], v[11:12]
	global_store_dwordx2 v[1:2], v[7:8], off
	s_andn2_b64 exec, exec, s[2:3]
	s_cbranch_execnz .LBB5_98
.LBB5_99:
	s_endpgm
	.section	.rodata,"a",@progbits
	.p2align	6, 0x0
	.amdhsa_kernel _ZN2at6native12_GLOBAL__N_135_unfold_backward_elementwise_kernelILi256ELi4EZNS1_32_unfold_backward_internal_kernelIdEEvRNS_14TensorIteratorEllllllEUliE_EEviT1_
		.amdhsa_group_segment_fixed_size 0
		.amdhsa_private_segment_fixed_size 0
		.amdhsa_kernarg_size 464
		.amdhsa_user_sgpr_count 6
		.amdhsa_user_sgpr_private_segment_buffer 1
		.amdhsa_user_sgpr_dispatch_ptr 0
		.amdhsa_user_sgpr_queue_ptr 0
		.amdhsa_user_sgpr_kernarg_segment_ptr 1
		.amdhsa_user_sgpr_dispatch_id 0
		.amdhsa_user_sgpr_flat_scratch_init 0
		.amdhsa_user_sgpr_private_segment_size 0
		.amdhsa_uses_dynamic_stack 0
		.amdhsa_system_sgpr_private_segment_wavefront_offset 0
		.amdhsa_system_sgpr_workgroup_id_x 1
		.amdhsa_system_sgpr_workgroup_id_y 0
		.amdhsa_system_sgpr_workgroup_id_z 0
		.amdhsa_system_sgpr_workgroup_info 0
		.amdhsa_system_vgpr_workitem_id 0
		.amdhsa_next_free_vgpr 20
		.amdhsa_next_free_sgpr 58
		.amdhsa_reserve_vcc 1
		.amdhsa_reserve_flat_scratch 0
		.amdhsa_float_round_mode_32 0
		.amdhsa_float_round_mode_16_64 0
		.amdhsa_float_denorm_mode_32 3
		.amdhsa_float_denorm_mode_16_64 3
		.amdhsa_dx10_clamp 1
		.amdhsa_ieee_mode 1
		.amdhsa_fp16_overflow 0
		.amdhsa_exception_fp_ieee_invalid_op 0
		.amdhsa_exception_fp_denorm_src 0
		.amdhsa_exception_fp_ieee_div_zero 0
		.amdhsa_exception_fp_ieee_overflow 0
		.amdhsa_exception_fp_ieee_underflow 0
		.amdhsa_exception_fp_ieee_inexact 0
		.amdhsa_exception_int_div_zero 0
	.end_amdhsa_kernel
	.section	.text._ZN2at6native12_GLOBAL__N_135_unfold_backward_elementwise_kernelILi256ELi4EZNS1_32_unfold_backward_internal_kernelIdEEvRNS_14TensorIteratorEllllllEUliE_EEviT1_,"axG",@progbits,_ZN2at6native12_GLOBAL__N_135_unfold_backward_elementwise_kernelILi256ELi4EZNS1_32_unfold_backward_internal_kernelIdEEvRNS_14TensorIteratorEllllllEUliE_EEviT1_,comdat
.Lfunc_end5:
	.size	_ZN2at6native12_GLOBAL__N_135_unfold_backward_elementwise_kernelILi256ELi4EZNS1_32_unfold_backward_internal_kernelIdEEvRNS_14TensorIteratorEllllllEUliE_EEviT1_, .Lfunc_end5-_ZN2at6native12_GLOBAL__N_135_unfold_backward_elementwise_kernelILi256ELi4EZNS1_32_unfold_backward_internal_kernelIdEEvRNS_14TensorIteratorEllllllEUliE_EEviT1_
                                        ; -- End function
	.set _ZN2at6native12_GLOBAL__N_135_unfold_backward_elementwise_kernelILi256ELi4EZNS1_32_unfold_backward_internal_kernelIdEEvRNS_14TensorIteratorEllllllEUliE_EEviT1_.num_vgpr, 20
	.set _ZN2at6native12_GLOBAL__N_135_unfold_backward_elementwise_kernelILi256ELi4EZNS1_32_unfold_backward_internal_kernelIdEEvRNS_14TensorIteratorEllllllEUliE_EEviT1_.num_agpr, 0
	.set _ZN2at6native12_GLOBAL__N_135_unfold_backward_elementwise_kernelILi256ELi4EZNS1_32_unfold_backward_internal_kernelIdEEvRNS_14TensorIteratorEllllllEUliE_EEviT1_.numbered_sgpr, 58
	.set _ZN2at6native12_GLOBAL__N_135_unfold_backward_elementwise_kernelILi256ELi4EZNS1_32_unfold_backward_internal_kernelIdEEvRNS_14TensorIteratorEllllllEUliE_EEviT1_.num_named_barrier, 0
	.set _ZN2at6native12_GLOBAL__N_135_unfold_backward_elementwise_kernelILi256ELi4EZNS1_32_unfold_backward_internal_kernelIdEEvRNS_14TensorIteratorEllllllEUliE_EEviT1_.private_seg_size, 0
	.set _ZN2at6native12_GLOBAL__N_135_unfold_backward_elementwise_kernelILi256ELi4EZNS1_32_unfold_backward_internal_kernelIdEEvRNS_14TensorIteratorEllllllEUliE_EEviT1_.uses_vcc, 1
	.set _ZN2at6native12_GLOBAL__N_135_unfold_backward_elementwise_kernelILi256ELi4EZNS1_32_unfold_backward_internal_kernelIdEEvRNS_14TensorIteratorEllllllEUliE_EEviT1_.uses_flat_scratch, 0
	.set _ZN2at6native12_GLOBAL__N_135_unfold_backward_elementwise_kernelILi256ELi4EZNS1_32_unfold_backward_internal_kernelIdEEvRNS_14TensorIteratorEllllllEUliE_EEviT1_.has_dyn_sized_stack, 0
	.set _ZN2at6native12_GLOBAL__N_135_unfold_backward_elementwise_kernelILi256ELi4EZNS1_32_unfold_backward_internal_kernelIdEEvRNS_14TensorIteratorEllllllEUliE_EEviT1_.has_recursion, 0
	.set _ZN2at6native12_GLOBAL__N_135_unfold_backward_elementwise_kernelILi256ELi4EZNS1_32_unfold_backward_internal_kernelIdEEvRNS_14TensorIteratorEllllllEUliE_EEviT1_.has_indirect_call, 0
	.section	.AMDGPU.csdata,"",@progbits
; Kernel info:
; codeLenInByte = 9976
; TotalNumSgprs: 62
; NumVgprs: 20
; ScratchSize: 0
; MemoryBound: 0
; FloatMode: 240
; IeeeMode: 1
; LDSByteSize: 0 bytes/workgroup (compile time only)
; SGPRBlocks: 7
; VGPRBlocks: 4
; NumSGPRsForWavesPerEU: 62
; NumVGPRsForWavesPerEU: 20
; Occupancy: 10
; WaveLimiterHint : 1
; COMPUTE_PGM_RSRC2:SCRATCH_EN: 0
; COMPUTE_PGM_RSRC2:USER_SGPR: 6
; COMPUTE_PGM_RSRC2:TRAP_HANDLER: 0
; COMPUTE_PGM_RSRC2:TGID_X_EN: 1
; COMPUTE_PGM_RSRC2:TGID_Y_EN: 0
; COMPUTE_PGM_RSRC2:TGID_Z_EN: 0
; COMPUTE_PGM_RSRC2:TIDIG_COMP_CNT: 0
	.section	.text._ZN2at6native12_GLOBAL__N_135_unfold_backward_elementwise_kernelILi256ELi4EZNS1_32_unfold_backward_internal_kernelIfEEvRNS_14TensorIteratorEllllllEUliE_EEviT1_,"axG",@progbits,_ZN2at6native12_GLOBAL__N_135_unfold_backward_elementwise_kernelILi256ELi4EZNS1_32_unfold_backward_internal_kernelIfEEvRNS_14TensorIteratorEllllllEUliE_EEviT1_,comdat
	.globl	_ZN2at6native12_GLOBAL__N_135_unfold_backward_elementwise_kernelILi256ELi4EZNS1_32_unfold_backward_internal_kernelIfEEvRNS_14TensorIteratorEllllllEUliE_EEviT1_ ; -- Begin function _ZN2at6native12_GLOBAL__N_135_unfold_backward_elementwise_kernelILi256ELi4EZNS1_32_unfold_backward_internal_kernelIfEEvRNS_14TensorIteratorEllllllEUliE_EEviT1_
	.p2align	8
	.type	_ZN2at6native12_GLOBAL__N_135_unfold_backward_elementwise_kernelILi256ELi4EZNS1_32_unfold_backward_internal_kernelIfEEvRNS_14TensorIteratorEllllllEUliE_EEviT1_,@function
_ZN2at6native12_GLOBAL__N_135_unfold_backward_elementwise_kernelILi256ELi4EZNS1_32_unfold_backward_internal_kernelIfEEvRNS_14TensorIteratorEllllllEUliE_EEviT1_: ; @_ZN2at6native12_GLOBAL__N_135_unfold_backward_elementwise_kernelILi256ELi4EZNS1_32_unfold_backward_internal_kernelIfEEvRNS_14TensorIteratorEllllllEUliE_EEviT1_
; %bb.0:
	s_load_dword s51, s[4:5], 0x0
	s_load_dwordx8 s[24:31], s[4:5], 0x8
	s_add_u32 s33, s4, 8
	v_lshl_or_b32 v11, s6, 10, v0
	s_addc_u32 s50, s5, 0
	s_load_dwordx16 s[8:23], s[4:5], 0x190
	s_load_dwordx4 s[36:39], s[4:5], 0xcc
	s_load_dwordx2 s[6:7], s[4:5], 0xdc
	s_waitcnt lgkmcnt(0)
	v_sub_co_u32_e64 v0, s[0:1], s24, 1
	s_xor_b64 s[40:41], s[0:1], -1
	v_readfirstlane_b32 s0, v0
	s_min_u32 s31, s0, 15
	s_cmp_gt_u32 s24, 1
	v_cmp_lt_u32_e64 s[0:1], 1, v0
	s_cselect_b64 s[34:35], -1, 0
	s_add_u32 s4, s18, -1
	v_cndmask_b32_e64 v0, 0, 1, s[0:1]
	s_mov_b64 s[2:3], -1
	s_addc_u32 s5, s19, -1
	v_cmp_gt_i32_e32 vcc, s51, v11
	v_cmp_ne_u32_e64 s[0:1], 1, v0
	s_and_saveexec_b64 s[18:19], vcc
	s_cbranch_execnz .LBB6_4
; %bb.1:
	s_or_b64 exec, exec, s[18:19]
	v_cmp_gt_i32_e32 vcc, s51, v11
	s_and_saveexec_b64 s[18:19], vcc
	s_cbranch_execnz .LBB6_28
.LBB6_2:
	s_or_b64 exec, exec, s[18:19]
	v_cmp_gt_i32_e32 vcc, s51, v11
	s_and_saveexec_b64 s[18:19], vcc
	s_cbranch_execnz .LBB6_52
.LBB6_3:
	s_or_b64 exec, exec, s[18:19]
	v_cmp_gt_i32_e32 vcc, s51, v11
	s_and_saveexec_b64 s[2:3], vcc
	s_cbranch_execnz .LBB6_76
	s_branch .LBB6_99
.LBB6_4:
	s_and_b64 vcc, exec, s[0:1]
                                        ; implicit-def: $vgpr2
                                        ; implicit-def: $vgpr0
                                        ; implicit-def: $vgpr4
	s_cbranch_vccnz .LBB6_11
; %bb.5:
	v_mov_b32_e32 v2, 0
	s_andn2_b64 vcc, exec, s[40:41]
	v_mov_b32_e32 v0, 0
	v_mov_b32_e32 v4, 0
	s_cbranch_vccnz .LBB6_10
; %bb.6:
	s_add_i32 s2, s31, 1
	s_and_b32 s24, s2, 30
	s_add_u32 s2, s33, 0xffffffe8
	s_addc_u32 s3, s50, -1
	v_mov_b32_e32 v4, 0
	v_mov_b32_e32 v0, 0
	;; [unrolled: 1-line block ×4, first 2 shown]
.LBB6_7:                                ; =>This Inner Loop Header: Depth=1
	s_load_dwordx4 s[44:47], s[2:3], 0x1c
	s_load_dwordx2 s[42:43], s[2:3], 0x2c
	s_load_dwordx2 s[48:49], s[2:3], 0xec
	s_load_dwordx4 s[52:55], s[2:3], 0xdc
	s_add_u32 s2, s2, 24
	s_waitcnt lgkmcnt(0)
	v_mul_hi_u32 v3, s45, v1
	s_addc_u32 s3, s3, 0
	s_add_i32 s24, s24, -2
	s_cmp_lg_u32 s24, 0
	v_add_u32_e32 v3, v1, v3
	v_lshrrev_b32_e32 v3, s46, v3
	v_mul_lo_u32 v5, v3, s44
	v_mul_hi_u32 v6, s42, v3
	v_sub_u32_e32 v5, v1, v5
	v_add_u32_e32 v1, v3, v6
	v_lshrrev_b32_e32 v1, s43, v1
	v_mul_lo_u32 v8, v1, s47
	v_mul_lo_u32 v6, v5, s52
	v_mul_lo_u32 v7, v5, s53
	v_mul_lo_u32 v5, v5, s54
	v_sub_u32_e32 v3, v3, v8
	v_mul_lo_u32 v8, v3, s55
	v_mul_lo_u32 v9, v3, s48
	;; [unrolled: 1-line block ×3, first 2 shown]
	v_add3_u32 v2, v6, v2, v8
	v_add3_u32 v0, v7, v0, v9
	;; [unrolled: 1-line block ×3, first 2 shown]
	s_cbranch_scc1 .LBB6_7
; %bb.8:
	s_bitcmp1_b32 s31, 0
	s_cselect_b64 s[42:43], -1, 0
	s_and_b64 vcc, exec, s[42:43]
	s_cbranch_vccnz .LBB6_10
; %bb.9:
	s_load_dwordx2 s[42:43], s[2:3], 0x1c
	s_load_dword s24, s[2:3], 0x24
	s_load_dwordx2 s[44:45], s[2:3], 0xdc
	s_waitcnt lgkmcnt(0)
	v_mul_hi_u32 v3, s43, v1
	v_add_u32_e32 v3, v1, v3
	v_lshrrev_b32_e32 v3, s24, v3
	v_mul_lo_u32 v3, v3, s42
	s_load_dword s24, s[2:3], 0xe4
	v_sub_u32_e32 v5, v1, v3
	v_mad_u64_u32 v[2:3], s[2:3], v5, s44, v[2:3]
	v_mad_u64_u32 v[0:1], s[2:3], v5, s45, v[0:1]
	s_waitcnt lgkmcnt(0)
	v_mad_u64_u32 v[4:5], s[2:3], v5, s24, v[4:5]
.LBB6_10:
	s_mov_b64 s[2:3], 0
.LBB6_11:
	s_andn2_b64 vcc, exec, s[2:3]
	s_cbranch_vccnz .LBB6_14
; %bb.12:
	v_mul_hi_u32 v0, s26, v11
	s_andn2_b64 vcc, exec, s[34:35]
	v_add_u32_e32 v0, v11, v0
	v_lshrrev_b32_e32 v1, s27, v0
	v_mul_lo_u32 v0, v1, s25
	v_sub_u32_e32 v3, v11, v0
	v_mul_lo_u32 v2, v3, s36
	v_mul_lo_u32 v0, v3, s37
	;; [unrolled: 1-line block ×3, first 2 shown]
	s_cbranch_vccnz .LBB6_14
; %bb.13:
	v_mul_hi_u32 v3, s29, v1
	v_add_u32_e32 v3, v1, v3
	v_lshrrev_b32_e32 v3, s30, v3
	v_mul_lo_u32 v3, v3, s28
	v_sub_u32_e32 v5, v1, v3
	v_mad_u64_u32 v[2:3], s[2:3], v5, s39, v[2:3]
	v_mad_u64_u32 v[0:1], s[2:3], v5, s6, v[0:1]
	;; [unrolled: 1-line block ×3, first 2 shown]
.LBB6_14:
	global_load_dwordx2 v[3:4], v4, s[12:13]
	v_mov_b32_e32 v5, 0
	v_mov_b32_e32 v6, 0
	s_waitcnt vmcnt(0)
	v_cmp_lt_i64_e32 vcc, s[14:15], v[3:4]
	s_and_saveexec_b64 s[42:43], vcc
	s_cbranch_execz .LBB6_20
; %bb.15:
	v_mov_b32_e32 v5, s15
	v_subrev_co_u32_e32 v1, vcc, s14, v3
	v_subb_co_u32_e32 v7, vcc, v4, v5, vcc
	v_or_b32_e32 v6, s17, v7
	v_mov_b32_e32 v5, 0
	v_cmp_ne_u64_e32 vcc, 0, v[5:6]
                                        ; implicit-def: $vgpr5_vgpr6
	s_and_saveexec_b64 s[2:3], vcc
	s_xor_b64 s[44:45], exec, s[2:3]
	s_cbranch_execz .LBB6_17
; %bb.16:
	s_ashr_i32 s46, s17, 31
	s_add_u32 s2, s16, s46
	s_mov_b32 s47, s46
	s_addc_u32 s3, s17, s46
	s_xor_b64 s[48:49], s[2:3], s[46:47]
	v_cvt_f32_u32_e32 v5, s48
	v_cvt_f32_u32_e32 v6, s49
	s_sub_u32 s24, 0, s48
	s_subb_u32 s47, 0, s49
	v_ashrrev_i32_e32 v9, 31, v7
	v_madmk_f32 v5, v6, 0x4f800000, v5
	v_rcp_f32_e32 v5, v5
	v_add_co_u32_e32 v1, vcc, v1, v9
	v_xor_b32_e32 v1, v1, v9
	v_mul_f32_e32 v5, 0x5f7ffffc, v5
	v_mul_f32_e32 v6, 0x2f800000, v5
	v_trunc_f32_e32 v6, v6
	v_madmk_f32 v5, v6, 0xcf800000, v5
	v_cvt_u32_f32_e32 v6, v6
	v_cvt_u32_f32_e32 v5, v5
	v_addc_co_u32_e32 v7, vcc, v7, v9, vcc
	v_readfirstlane_b32 s52, v6
	v_readfirstlane_b32 s2, v5
	s_mul_i32 s3, s24, s52
	s_mul_hi_u32 s54, s24, s2
	s_mul_i32 s53, s47, s2
	s_add_i32 s3, s54, s3
	s_add_i32 s3, s3, s53
	s_mul_i32 s55, s24, s2
	s_mul_i32 s54, s2, s3
	s_mul_hi_u32 s56, s2, s55
	s_mul_hi_u32 s53, s2, s3
	s_add_u32 s54, s56, s54
	s_addc_u32 s53, 0, s53
	s_mul_hi_u32 s57, s52, s55
	s_mul_i32 s55, s52, s55
	s_add_u32 s54, s54, s55
	s_mul_hi_u32 s56, s52, s3
	s_addc_u32 s53, s53, s57
	s_addc_u32 s54, s56, 0
	s_mul_i32 s3, s52, s3
	s_add_u32 s3, s53, s3
	s_addc_u32 s53, 0, s54
	s_add_u32 s54, s2, s3
	s_cselect_b64 s[2:3], -1, 0
	s_cmp_lg_u64 s[2:3], 0
	s_addc_u32 s52, s52, s53
	s_mul_i32 s2, s24, s52
	s_mul_hi_u32 s3, s24, s54
	s_add_i32 s2, s3, s2
	s_mul_i32 s47, s47, s54
	s_add_i32 s2, s2, s47
	s_mul_i32 s24, s24, s54
	s_mul_hi_u32 s47, s52, s24
	s_mul_i32 s53, s52, s24
	s_mul_i32 s56, s54, s2
	s_mul_hi_u32 s24, s54, s24
	s_mul_hi_u32 s55, s54, s2
	s_add_u32 s24, s24, s56
	s_addc_u32 s55, 0, s55
	s_add_u32 s24, s24, s53
	s_mul_hi_u32 s3, s52, s2
	s_addc_u32 s24, s55, s47
	s_addc_u32 s3, s3, 0
	s_mul_i32 s2, s52, s2
	s_add_u32 s2, s24, s2
	s_addc_u32 s24, 0, s3
	s_add_u32 s47, s54, s2
	s_cselect_b64 s[2:3], -1, 0
	s_cmp_lg_u64 s[2:3], 0
	s_addc_u32 s24, s52, s24
	v_mad_u64_u32 v[5:6], s[2:3], v1, s24, 0
	v_mul_hi_u32 v8, v1, s47
	v_xor_b32_e32 v10, v7, v9
	v_add_co_u32_e32 v12, vcc, v8, v5
	v_addc_co_u32_e32 v13, vcc, 0, v6, vcc
	v_mad_u64_u32 v[5:6], s[2:3], v10, s47, 0
	v_mad_u64_u32 v[7:8], s[2:3], v10, s24, 0
	v_add_co_u32_e32 v5, vcc, v12, v5
	v_addc_co_u32_e32 v5, vcc, v13, v6, vcc
	v_addc_co_u32_e32 v6, vcc, 0, v8, vcc
	v_add_co_u32_e32 v7, vcc, v5, v7
	v_addc_co_u32_e32 v8, vcc, 0, v6, vcc
	v_mul_lo_u32 v12, s49, v7
	v_mul_lo_u32 v13, s48, v8
	v_mad_u64_u32 v[5:6], s[2:3], s48, v7, 0
	v_add3_u32 v6, v6, v13, v12
	v_sub_u32_e32 v12, v10, v6
	v_mov_b32_e32 v13, s49
	v_sub_co_u32_e32 v1, vcc, v1, v5
	v_subb_co_u32_e64 v5, s[2:3], v12, v13, vcc
	v_subrev_co_u32_e64 v12, s[2:3], s48, v1
	v_subbrev_co_u32_e64 v5, s[2:3], 0, v5, s[2:3]
	v_cmp_le_u32_e64 s[2:3], s49, v5
	v_cndmask_b32_e64 v13, 0, -1, s[2:3]
	v_cmp_le_u32_e64 s[2:3], s48, v12
	v_cndmask_b32_e64 v12, 0, -1, s[2:3]
	v_cmp_eq_u32_e64 s[2:3], s49, v5
	v_cndmask_b32_e64 v5, v13, v12, s[2:3]
	v_add_co_u32_e64 v12, s[2:3], 2, v7
	v_subb_co_u32_e32 v6, vcc, v10, v6, vcc
	v_addc_co_u32_e64 v13, s[2:3], 0, v8, s[2:3]
	v_cmp_le_u32_e32 vcc, s49, v6
	v_add_co_u32_e64 v14, s[2:3], 1, v7
	v_cndmask_b32_e64 v10, 0, -1, vcc
	v_cmp_le_u32_e32 vcc, s48, v1
	v_addc_co_u32_e64 v15, s[2:3], 0, v8, s[2:3]
	v_cndmask_b32_e64 v1, 0, -1, vcc
	v_cmp_eq_u32_e32 vcc, s49, v6
	v_cmp_ne_u32_e64 s[2:3], 0, v5
	v_cndmask_b32_e32 v1, v10, v1, vcc
	v_cndmask_b32_e64 v5, v15, v13, s[2:3]
	v_cmp_ne_u32_e32 vcc, 0, v1
	v_cndmask_b32_e32 v1, v8, v5, vcc
	v_cndmask_b32_e64 v5, v14, v12, s[2:3]
	v_cndmask_b32_e32 v5, v7, v5, vcc
	v_xor_b32_e32 v6, s46, v9
	v_xor_b32_e32 v5, v5, v6
	;; [unrolled: 1-line block ×3, first 2 shown]
	v_sub_co_u32_e32 v5, vcc, v5, v6
	v_subb_co_u32_e32 v6, vcc, v1, v6, vcc
                                        ; implicit-def: $vgpr1
.LBB6_17:
	s_andn2_saveexec_b64 s[2:3], s[44:45]
	s_cbranch_execz .LBB6_19
; %bb.18:
	v_cvt_f32_u32_e32 v5, s16
	s_sub_i32 s24, 0, s16
	v_rcp_iflag_f32_e32 v5, v5
	v_mul_f32_e32 v5, 0x4f7ffffe, v5
	v_cvt_u32_f32_e32 v5, v5
	v_mul_lo_u32 v6, s24, v5
	v_mul_hi_u32 v6, v5, v6
	v_add_u32_e32 v5, v5, v6
	v_mul_hi_u32 v5, v1, v5
	v_mul_lo_u32 v6, v5, s16
	v_add_u32_e32 v7, 1, v5
	v_sub_u32_e32 v1, v1, v6
	v_subrev_u32_e32 v6, s16, v1
	v_cmp_le_u32_e32 vcc, s16, v1
	v_cndmask_b32_e32 v1, v1, v6, vcc
	v_cndmask_b32_e32 v5, v5, v7, vcc
	v_add_u32_e32 v6, 1, v5
	v_cmp_le_u32_e32 vcc, s16, v1
	v_cndmask_b32_e32 v5, v5, v6, vcc
	v_mov_b32_e32 v6, 0
.LBB6_19:
	s_or_b64 exec, exec, s[2:3]
.LBB6_20:
	s_or_b64 exec, exec, s[42:43]
	v_or_b32_e32 v8, s17, v4
	v_mov_b32_e32 v7, 0
	v_cmp_ne_u64_e32 vcc, 0, v[7:8]
                                        ; implicit-def: $vgpr7_vgpr8
	s_and_saveexec_b64 s[2:3], vcc
	s_xor_b64 s[42:43], exec, s[2:3]
	s_cbranch_execz .LBB6_22
; %bb.21:
	s_ashr_i32 s44, s17, 31
	s_add_u32 s2, s16, s44
	s_mov_b32 s45, s44
	s_addc_u32 s3, s17, s44
	s_xor_b64 s[46:47], s[2:3], s[44:45]
	v_cvt_f32_u32_e32 v1, s46
	v_cvt_f32_u32_e32 v7, s47
	s_sub_u32 s24, 0, s46
	s_subb_u32 s45, 0, s47
	v_madmk_f32 v1, v7, 0x4f800000, v1
	v_rcp_f32_e32 v1, v1
	v_mul_f32_e32 v1, 0x5f7ffffc, v1
	v_mul_f32_e32 v7, 0x2f800000, v1
	v_trunc_f32_e32 v7, v7
	v_madmk_f32 v1, v7, 0xcf800000, v1
	v_cvt_u32_f32_e32 v7, v7
	v_cvt_u32_f32_e32 v1, v1
	v_readfirstlane_b32 s48, v7
	v_readfirstlane_b32 s2, v1
	s_mul_i32 s3, s24, s48
	s_mul_hi_u32 s52, s24, s2
	s_mul_i32 s49, s45, s2
	s_add_i32 s3, s52, s3
	s_add_i32 s3, s3, s49
	s_mul_i32 s53, s24, s2
	s_mul_i32 s52, s2, s3
	s_mul_hi_u32 s54, s2, s53
	s_mul_hi_u32 s49, s2, s3
	s_add_u32 s52, s54, s52
	s_addc_u32 s49, 0, s49
	s_mul_hi_u32 s55, s48, s53
	s_mul_i32 s53, s48, s53
	s_add_u32 s52, s52, s53
	s_mul_hi_u32 s54, s48, s3
	s_addc_u32 s49, s49, s55
	s_addc_u32 s52, s54, 0
	s_mul_i32 s3, s48, s3
	s_add_u32 s3, s49, s3
	s_addc_u32 s49, 0, s52
	s_add_u32 s52, s2, s3
	s_cselect_b64 s[2:3], -1, 0
	s_cmp_lg_u64 s[2:3], 0
	s_addc_u32 s48, s48, s49
	s_mul_i32 s2, s24, s48
	s_mul_hi_u32 s3, s24, s52
	s_add_i32 s2, s3, s2
	s_mul_i32 s45, s45, s52
	s_add_i32 s2, s2, s45
	s_mul_i32 s24, s24, s52
	s_mul_hi_u32 s45, s48, s24
	s_mul_i32 s49, s48, s24
	s_mul_i32 s54, s52, s2
	s_mul_hi_u32 s24, s52, s24
	s_mul_hi_u32 s53, s52, s2
	s_add_u32 s24, s24, s54
	s_addc_u32 s53, 0, s53
	s_add_u32 s24, s24, s49
	s_mul_hi_u32 s3, s48, s2
	s_addc_u32 s24, s53, s45
	s_addc_u32 s3, s3, 0
	s_mul_i32 s2, s48, s2
	s_add_u32 s2, s24, s2
	s_addc_u32 s24, 0, s3
	s_add_u32 s45, s52, s2
	s_cselect_b64 s[2:3], -1, 0
	v_ashrrev_i32_e32 v1, 31, v4
	s_cmp_lg_u64 s[2:3], 0
	v_add_co_u32_e32 v7, vcc, v3, v1
	s_addc_u32 s24, s48, s24
	v_xor_b32_e32 v12, v7, v1
	v_mad_u64_u32 v[7:8], s[2:3], v12, s24, 0
	v_mul_hi_u32 v10, v12, s45
	v_addc_co_u32_e32 v9, vcc, v4, v1, vcc
	v_xor_b32_e32 v13, v9, v1
	v_add_co_u32_e32 v14, vcc, v10, v7
	v_addc_co_u32_e32 v15, vcc, 0, v8, vcc
	v_mad_u64_u32 v[7:8], s[2:3], v13, s45, 0
	v_mad_u64_u32 v[9:10], s[2:3], v13, s24, 0
	v_add_co_u32_e32 v7, vcc, v14, v7
	v_addc_co_u32_e32 v7, vcc, v15, v8, vcc
	v_addc_co_u32_e32 v8, vcc, 0, v10, vcc
	v_add_co_u32_e32 v9, vcc, v7, v9
	v_addc_co_u32_e32 v10, vcc, 0, v8, vcc
	v_mul_lo_u32 v14, s47, v9
	v_mul_lo_u32 v15, s46, v10
	v_mad_u64_u32 v[7:8], s[2:3], s46, v9, 0
	v_xor_b32_e32 v1, s44, v1
	v_add3_u32 v8, v8, v15, v14
	v_sub_u32_e32 v14, v13, v8
	v_mov_b32_e32 v15, s47
	v_sub_co_u32_e32 v7, vcc, v12, v7
	v_subb_co_u32_e64 v12, s[2:3], v14, v15, vcc
	v_subrev_co_u32_e64 v14, s[2:3], s46, v7
	v_subbrev_co_u32_e64 v12, s[2:3], 0, v12, s[2:3]
	v_cmp_le_u32_e64 s[2:3], s47, v12
	v_cndmask_b32_e64 v15, 0, -1, s[2:3]
	v_cmp_le_u32_e64 s[2:3], s46, v14
	v_cndmask_b32_e64 v14, 0, -1, s[2:3]
	v_cmp_eq_u32_e64 s[2:3], s47, v12
	v_cndmask_b32_e64 v12, v15, v14, s[2:3]
	v_add_co_u32_e64 v14, s[2:3], 2, v9
	v_subb_co_u32_e32 v8, vcc, v13, v8, vcc
	v_addc_co_u32_e64 v15, s[2:3], 0, v10, s[2:3]
	v_cmp_le_u32_e32 vcc, s47, v8
	v_add_co_u32_e64 v16, s[2:3], 1, v9
	v_cndmask_b32_e64 v13, 0, -1, vcc
	v_cmp_le_u32_e32 vcc, s46, v7
	v_addc_co_u32_e64 v17, s[2:3], 0, v10, s[2:3]
	v_cndmask_b32_e64 v7, 0, -1, vcc
	v_cmp_eq_u32_e32 vcc, s47, v8
	v_cmp_ne_u32_e64 s[2:3], 0, v12
	v_cndmask_b32_e32 v7, v13, v7, vcc
	v_cndmask_b32_e64 v12, v17, v15, s[2:3]
	v_cmp_ne_u32_e32 vcc, 0, v7
	v_cndmask_b32_e64 v8, v16, v14, s[2:3]
	v_cndmask_b32_e32 v7, v10, v12, vcc
	v_cndmask_b32_e32 v8, v9, v8, vcc
	v_xor_b32_e32 v9, v7, v1
	v_xor_b32_e32 v7, v8, v1
	v_sub_co_u32_e32 v7, vcc, v7, v1
	v_subb_co_u32_e32 v8, vcc, v9, v1, vcc
.LBB6_22:
	s_andn2_saveexec_b64 s[2:3], s[42:43]
	s_cbranch_execz .LBB6_24
; %bb.23:
	v_cvt_f32_u32_e32 v1, s16
	s_sub_i32 s24, 0, s16
	v_rcp_iflag_f32_e32 v1, v1
	v_mul_f32_e32 v1, 0x4f7ffffe, v1
	v_cvt_u32_f32_e32 v1, v1
	v_mul_lo_u32 v7, s24, v1
	v_mul_hi_u32 v7, v1, v7
	v_add_u32_e32 v1, v1, v7
	v_mul_hi_u32 v1, v3, v1
	v_mul_lo_u32 v7, v1, s16
	v_add_u32_e32 v8, 1, v1
	v_sub_u32_e32 v7, v3, v7
	v_subrev_u32_e32 v9, s16, v7
	v_cmp_le_u32_e32 vcc, s16, v7
	v_cndmask_b32_e32 v7, v7, v9, vcc
	v_cndmask_b32_e32 v1, v1, v8, vcc
	v_add_u32_e32 v8, 1, v1
	v_cmp_le_u32_e32 vcc, s16, v7
	v_cndmask_b32_e32 v7, v1, v8, vcc
	v_mov_b32_e32 v8, 0
.LBB6_24:
	s_or_b64 exec, exec, s[2:3]
	v_mul_lo_u32 v1, v6, s16
	v_mul_lo_u32 v12, v5, s17
	v_mad_u64_u32 v[9:10], s[2:3], v5, s16, 0
	v_add3_u32 v10, v10, v12, v1
	v_cmp_gt_i64_e32 vcc, v[9:10], v[3:4]
	v_mov_b32_e32 v1, s15
	v_add_co_u32_e64 v9, s[2:3], s14, v9
	v_addc_co_u32_e64 v10, s[2:3], v10, v1, s[2:3]
	v_cmp_ge_i64_e64 s[2:3], v[3:4], v[9:10]
	s_or_b64 s[2:3], vcc, s[2:3]
	v_cndmask_b32_e64 v1, 0, 1, s[2:3]
	v_add_co_u32_e32 v9, vcc, v5, v1
	v_addc_co_u32_e32 v10, vcc, 0, v6, vcc
	v_cmp_gt_i64_e32 vcc, s[4:5], v[7:8]
	v_mov_b32_e32 v1, s5
	v_cndmask_b32_e32 v6, v1, v8, vcc
	v_mov_b32_e32 v1, s4
	v_cndmask_b32_e32 v5, v1, v7, vcc
	v_cmp_le_i64_e32 vcc, v[9:10], v[5:6]
	s_and_saveexec_b64 s[42:43], vcc
	s_cbranch_execz .LBB6_27
; %bb.25:
	global_load_dword v12, v2, s[8:9]
	v_mul_lo_u32 v14, s17, v9
	v_mul_lo_u32 v15, s16, v10
	v_mad_u64_u32 v[7:8], s[2:3], s16, v9, 0
	v_mov_b32_e32 v13, s9
	v_add_co_u32_e32 v1, vcc, s8, v2
	v_addc_co_u32_e32 v2, vcc, 0, v13, vcc
	v_add3_u32 v8, v8, v15, v14
	v_sub_co_u32_e32 v3, vcc, v3, v7
	v_subb_co_u32_e32 v4, vcc, v4, v8, vcc
	v_mul_lo_u32 v15, s23, v3
	v_mul_lo_u32 v16, s22, v4
	v_mad_u64_u32 v[7:8], s[2:3], s22, v3, 0
	v_mul_lo_u32 v17, s21, v9
	v_mul_lo_u32 v18, s20, v10
	v_mad_u64_u32 v[13:14], s[2:3], s20, v9, 0
	v_add_co_u32_e32 v3, vcc, -1, v9
	v_add3_u32 v8, v8, v16, v15
	v_add3_u32 v14, v14, v18, v17
	v_addc_co_u32_e32 v4, vcc, -1, v10, vcc
	v_lshlrev_b64 v[7:8], 2, v[7:8]
	v_lshlrev_b64 v[9:10], 2, v[13:14]
	s_mul_i32 s24, s16, s23
	v_add_co_u32_e32 v7, vcc, v7, v9
	s_mul_hi_u32 s44, s16, s22
	v_addc_co_u32_e32 v8, vcc, v8, v10, vcc
	s_add_i32 s24, s44, s24
	s_mul_i32 s44, s17, s22
	v_add_co_u32_e32 v0, vcc, v7, v0
	s_add_i32 s45, s24, s44
	s_mul_i32 s44, s16, s22
	v_addc_co_u32_e32 v8, vcc, 0, v8, vcc
	s_lshl_b64 s[2:3], s[20:21], 2
	s_lshl_b64 s[44:45], s[44:45], 2
	v_mov_b32_e32 v9, s11
	v_add_co_u32_e32 v7, vcc, s10, v0
	s_sub_u32 s24, s2, s44
	v_addc_co_u32_e32 v8, vcc, v9, v8, vcc
	s_subb_u32 s46, s3, s45
	s_mov_b64 s[44:45], 0
.LBB6_26:                               ; =>This Inner Loop Header: Depth=1
	global_load_dword v0, v[7:8], off
	v_add_co_u32_e32 v3, vcc, 1, v3
	v_addc_co_u32_e32 v4, vcc, 0, v4, vcc
	v_cmp_ge_i64_e64 s[2:3], v[3:4], v[5:6]
	v_mov_b32_e32 v9, s46
	v_add_co_u32_e32 v7, vcc, s24, v7
	v_addc_co_u32_e32 v8, vcc, v8, v9, vcc
	s_or_b64 s[44:45], s[2:3], s[44:45]
	s_waitcnt vmcnt(0)
	v_add_f32_e32 v12, v12, v0
	global_store_dword v[1:2], v12, off
	s_andn2_b64 exec, exec, s[44:45]
	s_cbranch_execnz .LBB6_26
.LBB6_27:
	s_or_b64 exec, exec, s[42:43]
	v_add_u32_e32 v11, 0x100, v11
	s_or_b64 exec, exec, s[18:19]
	v_cmp_gt_i32_e32 vcc, s51, v11
	s_and_saveexec_b64 s[18:19], vcc
	s_cbranch_execz .LBB6_2
.LBB6_28:
	s_and_b64 vcc, exec, s[0:1]
	s_cbranch_vccnz .LBB6_35
; %bb.29:
	v_mov_b32_e32 v2, 0
	s_andn2_b64 vcc, exec, s[40:41]
	v_mov_b32_e32 v0, 0
	v_mov_b32_e32 v4, 0
	s_cbranch_vccnz .LBB6_34
; %bb.30:
	s_add_i32 s2, s31, 1
	s_and_b32 s24, s2, 30
	s_add_u32 s2, s33, 0xffffffe8
	s_addc_u32 s3, s50, -1
	v_mov_b32_e32 v4, 0
	v_mov_b32_e32 v0, 0
	;; [unrolled: 1-line block ×4, first 2 shown]
.LBB6_31:                               ; =>This Inner Loop Header: Depth=1
	s_load_dwordx4 s[44:47], s[2:3], 0x1c
	s_load_dwordx2 s[42:43], s[2:3], 0x2c
	s_load_dwordx2 s[48:49], s[2:3], 0xec
	s_load_dwordx4 s[52:55], s[2:3], 0xdc
	s_add_u32 s2, s2, 24
	s_waitcnt lgkmcnt(0)
	v_mul_hi_u32 v3, s45, v1
	s_addc_u32 s3, s3, 0
	s_add_i32 s24, s24, -2
	s_cmp_eq_u32 s24, 0
	v_add_u32_e32 v3, v1, v3
	v_lshrrev_b32_e32 v3, s46, v3
	v_mul_lo_u32 v5, v3, s44
	v_mul_hi_u32 v6, s42, v3
	v_sub_u32_e32 v5, v1, v5
	v_add_u32_e32 v1, v3, v6
	v_lshrrev_b32_e32 v1, s43, v1
	v_mul_lo_u32 v8, v1, s47
	v_mul_lo_u32 v6, v5, s52
	;; [unrolled: 1-line block ×4, first 2 shown]
	v_sub_u32_e32 v3, v3, v8
	v_mul_lo_u32 v8, v3, s55
	v_mul_lo_u32 v9, v3, s48
	;; [unrolled: 1-line block ×3, first 2 shown]
	v_add3_u32 v2, v6, v2, v8
	v_add3_u32 v0, v7, v0, v9
	;; [unrolled: 1-line block ×3, first 2 shown]
	s_cbranch_scc0 .LBB6_31
; %bb.32:
	s_bitcmp1_b32 s31, 0
	s_cselect_b64 s[42:43], -1, 0
	s_and_b64 vcc, exec, s[42:43]
	s_cbranch_vccnz .LBB6_34
; %bb.33:
	s_load_dwordx2 s[42:43], s[2:3], 0x1c
	s_load_dword s24, s[2:3], 0x24
	s_load_dwordx2 s[44:45], s[2:3], 0xdc
	s_waitcnt lgkmcnt(0)
	v_mul_hi_u32 v3, s43, v1
	v_add_u32_e32 v3, v1, v3
	v_lshrrev_b32_e32 v3, s24, v3
	v_mul_lo_u32 v3, v3, s42
	s_load_dword s24, s[2:3], 0xe4
	v_sub_u32_e32 v5, v1, v3
	v_mad_u64_u32 v[2:3], s[2:3], v5, s44, v[2:3]
	v_mad_u64_u32 v[0:1], s[2:3], v5, s45, v[0:1]
	s_waitcnt lgkmcnt(0)
	v_mad_u64_u32 v[4:5], s[2:3], v5, s24, v[4:5]
.LBB6_34:
	s_cbranch_execz .LBB6_36
	s_branch .LBB6_38
.LBB6_35:
                                        ; implicit-def: $vgpr2
                                        ; implicit-def: $vgpr0
                                        ; implicit-def: $vgpr4
.LBB6_36:
	v_mul_hi_u32 v0, s26, v11
	s_andn2_b64 vcc, exec, s[34:35]
	v_add_u32_e32 v0, v11, v0
	v_lshrrev_b32_e32 v1, s27, v0
	v_mul_lo_u32 v0, v1, s25
	v_sub_u32_e32 v3, v11, v0
	v_mul_lo_u32 v2, v3, s36
	v_mul_lo_u32 v0, v3, s37
	;; [unrolled: 1-line block ×3, first 2 shown]
	s_cbranch_vccnz .LBB6_38
; %bb.37:
	v_mul_hi_u32 v3, s29, v1
	v_add_u32_e32 v3, v1, v3
	v_lshrrev_b32_e32 v3, s30, v3
	v_mul_lo_u32 v3, v3, s28
	v_sub_u32_e32 v5, v1, v3
	v_mad_u64_u32 v[2:3], s[2:3], v5, s39, v[2:3]
	v_mad_u64_u32 v[0:1], s[2:3], v5, s6, v[0:1]
	;; [unrolled: 1-line block ×3, first 2 shown]
.LBB6_38:
	global_load_dwordx2 v[3:4], v4, s[12:13]
	v_mov_b32_e32 v5, 0
	v_mov_b32_e32 v6, 0
	s_waitcnt vmcnt(0)
	v_cmp_lt_i64_e32 vcc, s[14:15], v[3:4]
	s_and_saveexec_b64 s[42:43], vcc
	s_cbranch_execz .LBB6_44
; %bb.39:
	v_mov_b32_e32 v5, s15
	v_subrev_co_u32_e32 v1, vcc, s14, v3
	v_subb_co_u32_e32 v7, vcc, v4, v5, vcc
	v_or_b32_e32 v6, s17, v7
	v_mov_b32_e32 v5, 0
	v_cmp_ne_u64_e32 vcc, 0, v[5:6]
                                        ; implicit-def: $vgpr5_vgpr6
	s_and_saveexec_b64 s[2:3], vcc
	s_xor_b64 s[44:45], exec, s[2:3]
	s_cbranch_execz .LBB6_41
; %bb.40:
	s_ashr_i32 s46, s17, 31
	s_add_u32 s2, s16, s46
	s_mov_b32 s47, s46
	s_addc_u32 s3, s17, s46
	s_xor_b64 s[48:49], s[2:3], s[46:47]
	v_cvt_f32_u32_e32 v5, s48
	v_cvt_f32_u32_e32 v6, s49
	s_sub_u32 s24, 0, s48
	s_subb_u32 s47, 0, s49
	v_ashrrev_i32_e32 v9, 31, v7
	v_madmk_f32 v5, v6, 0x4f800000, v5
	v_rcp_f32_e32 v5, v5
	v_add_co_u32_e32 v1, vcc, v1, v9
	v_xor_b32_e32 v1, v1, v9
	v_mul_f32_e32 v5, 0x5f7ffffc, v5
	v_mul_f32_e32 v6, 0x2f800000, v5
	v_trunc_f32_e32 v6, v6
	v_madmk_f32 v5, v6, 0xcf800000, v5
	v_cvt_u32_f32_e32 v6, v6
	v_cvt_u32_f32_e32 v5, v5
	v_addc_co_u32_e32 v7, vcc, v7, v9, vcc
	v_readfirstlane_b32 s52, v6
	v_readfirstlane_b32 s2, v5
	s_mul_i32 s3, s24, s52
	s_mul_hi_u32 s54, s24, s2
	s_mul_i32 s53, s47, s2
	s_add_i32 s3, s54, s3
	s_add_i32 s3, s3, s53
	s_mul_i32 s55, s24, s2
	s_mul_i32 s54, s2, s3
	s_mul_hi_u32 s56, s2, s55
	s_mul_hi_u32 s53, s2, s3
	s_add_u32 s54, s56, s54
	s_addc_u32 s53, 0, s53
	s_mul_hi_u32 s57, s52, s55
	s_mul_i32 s55, s52, s55
	s_add_u32 s54, s54, s55
	s_mul_hi_u32 s56, s52, s3
	s_addc_u32 s53, s53, s57
	s_addc_u32 s54, s56, 0
	s_mul_i32 s3, s52, s3
	s_add_u32 s3, s53, s3
	s_addc_u32 s53, 0, s54
	s_add_u32 s54, s2, s3
	s_cselect_b64 s[2:3], -1, 0
	s_cmp_lg_u64 s[2:3], 0
	s_addc_u32 s52, s52, s53
	s_mul_i32 s2, s24, s52
	s_mul_hi_u32 s3, s24, s54
	s_add_i32 s2, s3, s2
	s_mul_i32 s47, s47, s54
	s_add_i32 s2, s2, s47
	s_mul_i32 s24, s24, s54
	s_mul_hi_u32 s47, s52, s24
	s_mul_i32 s53, s52, s24
	s_mul_i32 s56, s54, s2
	s_mul_hi_u32 s24, s54, s24
	s_mul_hi_u32 s55, s54, s2
	s_add_u32 s24, s24, s56
	s_addc_u32 s55, 0, s55
	s_add_u32 s24, s24, s53
	s_mul_hi_u32 s3, s52, s2
	s_addc_u32 s24, s55, s47
	s_addc_u32 s3, s3, 0
	s_mul_i32 s2, s52, s2
	s_add_u32 s2, s24, s2
	s_addc_u32 s24, 0, s3
	s_add_u32 s47, s54, s2
	s_cselect_b64 s[2:3], -1, 0
	s_cmp_lg_u64 s[2:3], 0
	s_addc_u32 s24, s52, s24
	v_mad_u64_u32 v[5:6], s[2:3], v1, s24, 0
	v_mul_hi_u32 v8, v1, s47
	v_xor_b32_e32 v10, v7, v9
	v_add_co_u32_e32 v12, vcc, v8, v5
	v_addc_co_u32_e32 v13, vcc, 0, v6, vcc
	v_mad_u64_u32 v[5:6], s[2:3], v10, s47, 0
	v_mad_u64_u32 v[7:8], s[2:3], v10, s24, 0
	v_add_co_u32_e32 v5, vcc, v12, v5
	v_addc_co_u32_e32 v5, vcc, v13, v6, vcc
	v_addc_co_u32_e32 v6, vcc, 0, v8, vcc
	v_add_co_u32_e32 v7, vcc, v5, v7
	v_addc_co_u32_e32 v8, vcc, 0, v6, vcc
	v_mul_lo_u32 v12, s49, v7
	v_mul_lo_u32 v13, s48, v8
	v_mad_u64_u32 v[5:6], s[2:3], s48, v7, 0
	v_add3_u32 v6, v6, v13, v12
	v_sub_u32_e32 v12, v10, v6
	v_mov_b32_e32 v13, s49
	v_sub_co_u32_e32 v1, vcc, v1, v5
	v_subb_co_u32_e64 v5, s[2:3], v12, v13, vcc
	v_subrev_co_u32_e64 v12, s[2:3], s48, v1
	v_subbrev_co_u32_e64 v5, s[2:3], 0, v5, s[2:3]
	v_cmp_le_u32_e64 s[2:3], s49, v5
	v_cndmask_b32_e64 v13, 0, -1, s[2:3]
	v_cmp_le_u32_e64 s[2:3], s48, v12
	v_cndmask_b32_e64 v12, 0, -1, s[2:3]
	v_cmp_eq_u32_e64 s[2:3], s49, v5
	v_cndmask_b32_e64 v5, v13, v12, s[2:3]
	v_add_co_u32_e64 v12, s[2:3], 2, v7
	v_subb_co_u32_e32 v6, vcc, v10, v6, vcc
	v_addc_co_u32_e64 v13, s[2:3], 0, v8, s[2:3]
	v_cmp_le_u32_e32 vcc, s49, v6
	v_add_co_u32_e64 v14, s[2:3], 1, v7
	v_cndmask_b32_e64 v10, 0, -1, vcc
	v_cmp_le_u32_e32 vcc, s48, v1
	v_addc_co_u32_e64 v15, s[2:3], 0, v8, s[2:3]
	v_cndmask_b32_e64 v1, 0, -1, vcc
	v_cmp_eq_u32_e32 vcc, s49, v6
	v_cmp_ne_u32_e64 s[2:3], 0, v5
	v_cndmask_b32_e32 v1, v10, v1, vcc
	v_cndmask_b32_e64 v5, v15, v13, s[2:3]
	v_cmp_ne_u32_e32 vcc, 0, v1
	v_cndmask_b32_e32 v1, v8, v5, vcc
	v_cndmask_b32_e64 v5, v14, v12, s[2:3]
	v_cndmask_b32_e32 v5, v7, v5, vcc
	v_xor_b32_e32 v6, s46, v9
	v_xor_b32_e32 v5, v5, v6
	;; [unrolled: 1-line block ×3, first 2 shown]
	v_sub_co_u32_e32 v5, vcc, v5, v6
	v_subb_co_u32_e32 v6, vcc, v1, v6, vcc
                                        ; implicit-def: $vgpr1
.LBB6_41:
	s_andn2_saveexec_b64 s[2:3], s[44:45]
	s_cbranch_execz .LBB6_43
; %bb.42:
	v_cvt_f32_u32_e32 v5, s16
	s_sub_i32 s24, 0, s16
	v_rcp_iflag_f32_e32 v5, v5
	v_mul_f32_e32 v5, 0x4f7ffffe, v5
	v_cvt_u32_f32_e32 v5, v5
	v_mul_lo_u32 v6, s24, v5
	v_mul_hi_u32 v6, v5, v6
	v_add_u32_e32 v5, v5, v6
	v_mul_hi_u32 v5, v1, v5
	v_mul_lo_u32 v6, v5, s16
	v_add_u32_e32 v7, 1, v5
	v_sub_u32_e32 v1, v1, v6
	v_subrev_u32_e32 v6, s16, v1
	v_cmp_le_u32_e32 vcc, s16, v1
	v_cndmask_b32_e32 v1, v1, v6, vcc
	v_cndmask_b32_e32 v5, v5, v7, vcc
	v_add_u32_e32 v6, 1, v5
	v_cmp_le_u32_e32 vcc, s16, v1
	v_cndmask_b32_e32 v5, v5, v6, vcc
	v_mov_b32_e32 v6, 0
.LBB6_43:
	s_or_b64 exec, exec, s[2:3]
.LBB6_44:
	s_or_b64 exec, exec, s[42:43]
	v_or_b32_e32 v8, s17, v4
	v_mov_b32_e32 v7, 0
	v_cmp_ne_u64_e32 vcc, 0, v[7:8]
                                        ; implicit-def: $vgpr7_vgpr8
	s_and_saveexec_b64 s[2:3], vcc
	s_xor_b64 s[42:43], exec, s[2:3]
	s_cbranch_execz .LBB6_46
; %bb.45:
	s_ashr_i32 s44, s17, 31
	s_add_u32 s2, s16, s44
	s_mov_b32 s45, s44
	s_addc_u32 s3, s17, s44
	s_xor_b64 s[46:47], s[2:3], s[44:45]
	v_cvt_f32_u32_e32 v1, s46
	v_cvt_f32_u32_e32 v7, s47
	s_sub_u32 s24, 0, s46
	s_subb_u32 s45, 0, s47
	v_madmk_f32 v1, v7, 0x4f800000, v1
	v_rcp_f32_e32 v1, v1
	v_mul_f32_e32 v1, 0x5f7ffffc, v1
	v_mul_f32_e32 v7, 0x2f800000, v1
	v_trunc_f32_e32 v7, v7
	v_madmk_f32 v1, v7, 0xcf800000, v1
	v_cvt_u32_f32_e32 v7, v7
	v_cvt_u32_f32_e32 v1, v1
	v_readfirstlane_b32 s48, v7
	v_readfirstlane_b32 s2, v1
	s_mul_i32 s3, s24, s48
	s_mul_hi_u32 s52, s24, s2
	s_mul_i32 s49, s45, s2
	s_add_i32 s3, s52, s3
	s_add_i32 s3, s3, s49
	s_mul_i32 s53, s24, s2
	s_mul_i32 s52, s2, s3
	s_mul_hi_u32 s54, s2, s53
	s_mul_hi_u32 s49, s2, s3
	s_add_u32 s52, s54, s52
	s_addc_u32 s49, 0, s49
	s_mul_hi_u32 s55, s48, s53
	s_mul_i32 s53, s48, s53
	s_add_u32 s52, s52, s53
	s_mul_hi_u32 s54, s48, s3
	s_addc_u32 s49, s49, s55
	s_addc_u32 s52, s54, 0
	s_mul_i32 s3, s48, s3
	s_add_u32 s3, s49, s3
	s_addc_u32 s49, 0, s52
	s_add_u32 s52, s2, s3
	s_cselect_b64 s[2:3], -1, 0
	s_cmp_lg_u64 s[2:3], 0
	s_addc_u32 s48, s48, s49
	s_mul_i32 s2, s24, s48
	s_mul_hi_u32 s3, s24, s52
	s_add_i32 s2, s3, s2
	s_mul_i32 s45, s45, s52
	s_add_i32 s2, s2, s45
	s_mul_i32 s24, s24, s52
	s_mul_hi_u32 s45, s48, s24
	s_mul_i32 s49, s48, s24
	s_mul_i32 s54, s52, s2
	s_mul_hi_u32 s24, s52, s24
	s_mul_hi_u32 s53, s52, s2
	s_add_u32 s24, s24, s54
	s_addc_u32 s53, 0, s53
	s_add_u32 s24, s24, s49
	s_mul_hi_u32 s3, s48, s2
	s_addc_u32 s24, s53, s45
	s_addc_u32 s3, s3, 0
	s_mul_i32 s2, s48, s2
	s_add_u32 s2, s24, s2
	s_addc_u32 s24, 0, s3
	s_add_u32 s45, s52, s2
	s_cselect_b64 s[2:3], -1, 0
	v_ashrrev_i32_e32 v1, 31, v4
	s_cmp_lg_u64 s[2:3], 0
	v_add_co_u32_e32 v7, vcc, v3, v1
	s_addc_u32 s24, s48, s24
	v_xor_b32_e32 v12, v7, v1
	v_mad_u64_u32 v[7:8], s[2:3], v12, s24, 0
	v_mul_hi_u32 v10, v12, s45
	v_addc_co_u32_e32 v9, vcc, v4, v1, vcc
	v_xor_b32_e32 v13, v9, v1
	v_add_co_u32_e32 v14, vcc, v10, v7
	v_addc_co_u32_e32 v15, vcc, 0, v8, vcc
	v_mad_u64_u32 v[7:8], s[2:3], v13, s45, 0
	v_mad_u64_u32 v[9:10], s[2:3], v13, s24, 0
	v_add_co_u32_e32 v7, vcc, v14, v7
	v_addc_co_u32_e32 v7, vcc, v15, v8, vcc
	v_addc_co_u32_e32 v8, vcc, 0, v10, vcc
	v_add_co_u32_e32 v9, vcc, v7, v9
	v_addc_co_u32_e32 v10, vcc, 0, v8, vcc
	v_mul_lo_u32 v14, s47, v9
	v_mul_lo_u32 v15, s46, v10
	v_mad_u64_u32 v[7:8], s[2:3], s46, v9, 0
	v_xor_b32_e32 v1, s44, v1
	v_add3_u32 v8, v8, v15, v14
	v_sub_u32_e32 v14, v13, v8
	v_mov_b32_e32 v15, s47
	v_sub_co_u32_e32 v7, vcc, v12, v7
	v_subb_co_u32_e64 v12, s[2:3], v14, v15, vcc
	v_subrev_co_u32_e64 v14, s[2:3], s46, v7
	v_subbrev_co_u32_e64 v12, s[2:3], 0, v12, s[2:3]
	v_cmp_le_u32_e64 s[2:3], s47, v12
	v_cndmask_b32_e64 v15, 0, -1, s[2:3]
	v_cmp_le_u32_e64 s[2:3], s46, v14
	v_cndmask_b32_e64 v14, 0, -1, s[2:3]
	v_cmp_eq_u32_e64 s[2:3], s47, v12
	v_cndmask_b32_e64 v12, v15, v14, s[2:3]
	v_add_co_u32_e64 v14, s[2:3], 2, v9
	v_subb_co_u32_e32 v8, vcc, v13, v8, vcc
	v_addc_co_u32_e64 v15, s[2:3], 0, v10, s[2:3]
	v_cmp_le_u32_e32 vcc, s47, v8
	v_add_co_u32_e64 v16, s[2:3], 1, v9
	v_cndmask_b32_e64 v13, 0, -1, vcc
	v_cmp_le_u32_e32 vcc, s46, v7
	v_addc_co_u32_e64 v17, s[2:3], 0, v10, s[2:3]
	v_cndmask_b32_e64 v7, 0, -1, vcc
	v_cmp_eq_u32_e32 vcc, s47, v8
	v_cmp_ne_u32_e64 s[2:3], 0, v12
	v_cndmask_b32_e32 v7, v13, v7, vcc
	v_cndmask_b32_e64 v12, v17, v15, s[2:3]
	v_cmp_ne_u32_e32 vcc, 0, v7
	v_cndmask_b32_e64 v8, v16, v14, s[2:3]
	v_cndmask_b32_e32 v7, v10, v12, vcc
	v_cndmask_b32_e32 v8, v9, v8, vcc
	v_xor_b32_e32 v9, v7, v1
	v_xor_b32_e32 v7, v8, v1
	v_sub_co_u32_e32 v7, vcc, v7, v1
	v_subb_co_u32_e32 v8, vcc, v9, v1, vcc
.LBB6_46:
	s_andn2_saveexec_b64 s[2:3], s[42:43]
	s_cbranch_execz .LBB6_48
; %bb.47:
	v_cvt_f32_u32_e32 v1, s16
	s_sub_i32 s24, 0, s16
	v_rcp_iflag_f32_e32 v1, v1
	v_mul_f32_e32 v1, 0x4f7ffffe, v1
	v_cvt_u32_f32_e32 v1, v1
	v_mul_lo_u32 v7, s24, v1
	v_mul_hi_u32 v7, v1, v7
	v_add_u32_e32 v1, v1, v7
	v_mul_hi_u32 v1, v3, v1
	v_mul_lo_u32 v7, v1, s16
	v_add_u32_e32 v8, 1, v1
	v_sub_u32_e32 v7, v3, v7
	v_subrev_u32_e32 v9, s16, v7
	v_cmp_le_u32_e32 vcc, s16, v7
	v_cndmask_b32_e32 v7, v7, v9, vcc
	v_cndmask_b32_e32 v1, v1, v8, vcc
	v_add_u32_e32 v8, 1, v1
	v_cmp_le_u32_e32 vcc, s16, v7
	v_cndmask_b32_e32 v7, v1, v8, vcc
	v_mov_b32_e32 v8, 0
.LBB6_48:
	s_or_b64 exec, exec, s[2:3]
	v_mul_lo_u32 v1, v6, s16
	v_mul_lo_u32 v12, v5, s17
	v_mad_u64_u32 v[9:10], s[2:3], v5, s16, 0
	v_add3_u32 v10, v10, v12, v1
	v_cmp_gt_i64_e32 vcc, v[9:10], v[3:4]
	v_mov_b32_e32 v1, s15
	v_add_co_u32_e64 v9, s[2:3], s14, v9
	v_addc_co_u32_e64 v10, s[2:3], v10, v1, s[2:3]
	v_cmp_ge_i64_e64 s[2:3], v[3:4], v[9:10]
	s_or_b64 s[2:3], vcc, s[2:3]
	v_cndmask_b32_e64 v1, 0, 1, s[2:3]
	v_add_co_u32_e32 v9, vcc, v5, v1
	v_addc_co_u32_e32 v10, vcc, 0, v6, vcc
	v_cmp_gt_i64_e32 vcc, s[4:5], v[7:8]
	v_mov_b32_e32 v1, s5
	v_cndmask_b32_e32 v6, v1, v8, vcc
	v_mov_b32_e32 v1, s4
	v_cndmask_b32_e32 v5, v1, v7, vcc
	v_cmp_le_i64_e32 vcc, v[9:10], v[5:6]
	s_and_saveexec_b64 s[42:43], vcc
	s_cbranch_execz .LBB6_51
; %bb.49:
	global_load_dword v12, v2, s[8:9]
	v_mul_lo_u32 v14, s17, v9
	v_mul_lo_u32 v15, s16, v10
	v_mad_u64_u32 v[7:8], s[2:3], s16, v9, 0
	v_mov_b32_e32 v13, s9
	v_add_co_u32_e32 v1, vcc, s8, v2
	v_addc_co_u32_e32 v2, vcc, 0, v13, vcc
	v_add3_u32 v8, v8, v15, v14
	v_sub_co_u32_e32 v3, vcc, v3, v7
	v_subb_co_u32_e32 v4, vcc, v4, v8, vcc
	v_mul_lo_u32 v15, s23, v3
	v_mul_lo_u32 v16, s22, v4
	v_mad_u64_u32 v[7:8], s[2:3], s22, v3, 0
	v_mul_lo_u32 v17, s21, v9
	v_mul_lo_u32 v18, s20, v10
	v_mad_u64_u32 v[13:14], s[2:3], s20, v9, 0
	v_add_co_u32_e32 v3, vcc, -1, v9
	v_add3_u32 v8, v8, v16, v15
	v_add3_u32 v14, v14, v18, v17
	v_addc_co_u32_e32 v4, vcc, -1, v10, vcc
	v_lshlrev_b64 v[7:8], 2, v[7:8]
	v_lshlrev_b64 v[9:10], 2, v[13:14]
	s_mul_i32 s24, s16, s23
	v_add_co_u32_e32 v7, vcc, v7, v9
	s_mul_hi_u32 s44, s16, s22
	v_addc_co_u32_e32 v8, vcc, v8, v10, vcc
	s_add_i32 s24, s44, s24
	s_mul_i32 s44, s17, s22
	v_add_co_u32_e32 v0, vcc, v7, v0
	s_add_i32 s45, s24, s44
	s_mul_i32 s44, s16, s22
	v_addc_co_u32_e32 v8, vcc, 0, v8, vcc
	s_lshl_b64 s[2:3], s[20:21], 2
	s_lshl_b64 s[44:45], s[44:45], 2
	v_mov_b32_e32 v9, s11
	v_add_co_u32_e32 v7, vcc, s10, v0
	s_sub_u32 s24, s2, s44
	v_addc_co_u32_e32 v8, vcc, v9, v8, vcc
	s_subb_u32 s46, s3, s45
	s_mov_b64 s[44:45], 0
.LBB6_50:                               ; =>This Inner Loop Header: Depth=1
	global_load_dword v0, v[7:8], off
	v_add_co_u32_e32 v3, vcc, 1, v3
	v_addc_co_u32_e32 v4, vcc, 0, v4, vcc
	v_cmp_ge_i64_e64 s[2:3], v[3:4], v[5:6]
	v_mov_b32_e32 v9, s46
	v_add_co_u32_e32 v7, vcc, s24, v7
	v_addc_co_u32_e32 v8, vcc, v8, v9, vcc
	s_or_b64 s[44:45], s[2:3], s[44:45]
	s_waitcnt vmcnt(0)
	v_add_f32_e32 v12, v12, v0
	global_store_dword v[1:2], v12, off
	s_andn2_b64 exec, exec, s[44:45]
	s_cbranch_execnz .LBB6_50
.LBB6_51:
	s_or_b64 exec, exec, s[42:43]
	v_add_u32_e32 v11, 0x100, v11
	s_or_b64 exec, exec, s[18:19]
	v_cmp_gt_i32_e32 vcc, s51, v11
	s_and_saveexec_b64 s[18:19], vcc
	s_cbranch_execz .LBB6_3
.LBB6_52:
	s_and_b64 vcc, exec, s[0:1]
	s_cbranch_vccnz .LBB6_59
; %bb.53:
	v_mov_b32_e32 v2, 0
	s_andn2_b64 vcc, exec, s[40:41]
	v_mov_b32_e32 v0, 0
	v_mov_b32_e32 v4, 0
	s_cbranch_vccnz .LBB6_58
; %bb.54:
	s_add_i32 s2, s31, 1
	s_and_b32 s24, s2, 30
	s_add_u32 s2, s33, 0xffffffe8
	s_addc_u32 s3, s50, -1
	v_mov_b32_e32 v4, 0
	v_mov_b32_e32 v0, 0
	;; [unrolled: 1-line block ×4, first 2 shown]
.LBB6_55:                               ; =>This Inner Loop Header: Depth=1
	s_load_dwordx4 s[44:47], s[2:3], 0x1c
	s_load_dwordx2 s[42:43], s[2:3], 0x2c
	s_load_dwordx2 s[48:49], s[2:3], 0xec
	s_load_dwordx4 s[52:55], s[2:3], 0xdc
	s_add_u32 s2, s2, 24
	s_waitcnt lgkmcnt(0)
	v_mul_hi_u32 v3, s45, v1
	s_addc_u32 s3, s3, 0
	s_add_i32 s24, s24, -2
	s_cmp_eq_u32 s24, 0
	v_add_u32_e32 v3, v1, v3
	v_lshrrev_b32_e32 v3, s46, v3
	v_mul_lo_u32 v5, v3, s44
	v_mul_hi_u32 v6, s42, v3
	v_sub_u32_e32 v5, v1, v5
	v_add_u32_e32 v1, v3, v6
	v_lshrrev_b32_e32 v1, s43, v1
	v_mul_lo_u32 v8, v1, s47
	v_mul_lo_u32 v6, v5, s52
	;; [unrolled: 1-line block ×4, first 2 shown]
	v_sub_u32_e32 v3, v3, v8
	v_mul_lo_u32 v8, v3, s55
	v_mul_lo_u32 v9, v3, s48
	;; [unrolled: 1-line block ×3, first 2 shown]
	v_add3_u32 v2, v6, v2, v8
	v_add3_u32 v0, v7, v0, v9
	;; [unrolled: 1-line block ×3, first 2 shown]
	s_cbranch_scc0 .LBB6_55
; %bb.56:
	s_bitcmp1_b32 s31, 0
	s_cselect_b64 s[42:43], -1, 0
	s_and_b64 vcc, exec, s[42:43]
	s_cbranch_vccnz .LBB6_58
; %bb.57:
	s_load_dwordx2 s[42:43], s[2:3], 0x1c
	s_load_dword s24, s[2:3], 0x24
	s_load_dwordx2 s[44:45], s[2:3], 0xdc
	s_waitcnt lgkmcnt(0)
	v_mul_hi_u32 v3, s43, v1
	v_add_u32_e32 v3, v1, v3
	v_lshrrev_b32_e32 v3, s24, v3
	v_mul_lo_u32 v3, v3, s42
	s_load_dword s24, s[2:3], 0xe4
	v_sub_u32_e32 v5, v1, v3
	v_mad_u64_u32 v[2:3], s[2:3], v5, s44, v[2:3]
	v_mad_u64_u32 v[0:1], s[2:3], v5, s45, v[0:1]
	s_waitcnt lgkmcnt(0)
	v_mad_u64_u32 v[4:5], s[2:3], v5, s24, v[4:5]
.LBB6_58:
	s_cbranch_execz .LBB6_60
	s_branch .LBB6_62
.LBB6_59:
                                        ; implicit-def: $vgpr2
                                        ; implicit-def: $vgpr0
                                        ; implicit-def: $vgpr4
.LBB6_60:
	v_mul_hi_u32 v0, s26, v11
	s_andn2_b64 vcc, exec, s[34:35]
	v_add_u32_e32 v0, v11, v0
	v_lshrrev_b32_e32 v1, s27, v0
	v_mul_lo_u32 v0, v1, s25
	v_sub_u32_e32 v3, v11, v0
	v_mul_lo_u32 v2, v3, s36
	v_mul_lo_u32 v0, v3, s37
	;; [unrolled: 1-line block ×3, first 2 shown]
	s_cbranch_vccnz .LBB6_62
; %bb.61:
	v_mul_hi_u32 v3, s29, v1
	v_add_u32_e32 v3, v1, v3
	v_lshrrev_b32_e32 v3, s30, v3
	v_mul_lo_u32 v3, v3, s28
	v_sub_u32_e32 v5, v1, v3
	v_mad_u64_u32 v[2:3], s[2:3], v5, s39, v[2:3]
	v_mad_u64_u32 v[0:1], s[2:3], v5, s6, v[0:1]
	;; [unrolled: 1-line block ×3, first 2 shown]
.LBB6_62:
	global_load_dwordx2 v[3:4], v4, s[12:13]
	v_mov_b32_e32 v5, 0
	v_mov_b32_e32 v6, 0
	s_waitcnt vmcnt(0)
	v_cmp_lt_i64_e32 vcc, s[14:15], v[3:4]
	s_and_saveexec_b64 s[42:43], vcc
	s_cbranch_execz .LBB6_68
; %bb.63:
	v_mov_b32_e32 v5, s15
	v_subrev_co_u32_e32 v1, vcc, s14, v3
	v_subb_co_u32_e32 v7, vcc, v4, v5, vcc
	v_or_b32_e32 v6, s17, v7
	v_mov_b32_e32 v5, 0
	v_cmp_ne_u64_e32 vcc, 0, v[5:6]
                                        ; implicit-def: $vgpr5_vgpr6
	s_and_saveexec_b64 s[2:3], vcc
	s_xor_b64 s[44:45], exec, s[2:3]
	s_cbranch_execz .LBB6_65
; %bb.64:
	s_ashr_i32 s46, s17, 31
	s_add_u32 s2, s16, s46
	s_mov_b32 s47, s46
	s_addc_u32 s3, s17, s46
	s_xor_b64 s[48:49], s[2:3], s[46:47]
	v_cvt_f32_u32_e32 v5, s48
	v_cvt_f32_u32_e32 v6, s49
	s_sub_u32 s24, 0, s48
	s_subb_u32 s47, 0, s49
	v_ashrrev_i32_e32 v9, 31, v7
	v_madmk_f32 v5, v6, 0x4f800000, v5
	v_rcp_f32_e32 v5, v5
	v_add_co_u32_e32 v1, vcc, v1, v9
	v_xor_b32_e32 v1, v1, v9
	v_mul_f32_e32 v5, 0x5f7ffffc, v5
	v_mul_f32_e32 v6, 0x2f800000, v5
	v_trunc_f32_e32 v6, v6
	v_madmk_f32 v5, v6, 0xcf800000, v5
	v_cvt_u32_f32_e32 v6, v6
	v_cvt_u32_f32_e32 v5, v5
	v_addc_co_u32_e32 v7, vcc, v7, v9, vcc
	v_readfirstlane_b32 s52, v6
	v_readfirstlane_b32 s2, v5
	s_mul_i32 s3, s24, s52
	s_mul_hi_u32 s54, s24, s2
	s_mul_i32 s53, s47, s2
	s_add_i32 s3, s54, s3
	s_add_i32 s3, s3, s53
	s_mul_i32 s55, s24, s2
	s_mul_i32 s54, s2, s3
	s_mul_hi_u32 s56, s2, s55
	s_mul_hi_u32 s53, s2, s3
	s_add_u32 s54, s56, s54
	s_addc_u32 s53, 0, s53
	s_mul_hi_u32 s57, s52, s55
	s_mul_i32 s55, s52, s55
	s_add_u32 s54, s54, s55
	s_mul_hi_u32 s56, s52, s3
	s_addc_u32 s53, s53, s57
	s_addc_u32 s54, s56, 0
	s_mul_i32 s3, s52, s3
	s_add_u32 s3, s53, s3
	s_addc_u32 s53, 0, s54
	s_add_u32 s54, s2, s3
	s_cselect_b64 s[2:3], -1, 0
	s_cmp_lg_u64 s[2:3], 0
	s_addc_u32 s52, s52, s53
	s_mul_i32 s2, s24, s52
	s_mul_hi_u32 s3, s24, s54
	s_add_i32 s2, s3, s2
	s_mul_i32 s47, s47, s54
	s_add_i32 s2, s2, s47
	s_mul_i32 s24, s24, s54
	s_mul_hi_u32 s47, s52, s24
	s_mul_i32 s53, s52, s24
	s_mul_i32 s56, s54, s2
	s_mul_hi_u32 s24, s54, s24
	s_mul_hi_u32 s55, s54, s2
	s_add_u32 s24, s24, s56
	s_addc_u32 s55, 0, s55
	s_add_u32 s24, s24, s53
	s_mul_hi_u32 s3, s52, s2
	s_addc_u32 s24, s55, s47
	s_addc_u32 s3, s3, 0
	s_mul_i32 s2, s52, s2
	s_add_u32 s2, s24, s2
	s_addc_u32 s24, 0, s3
	s_add_u32 s47, s54, s2
	s_cselect_b64 s[2:3], -1, 0
	s_cmp_lg_u64 s[2:3], 0
	s_addc_u32 s24, s52, s24
	v_mad_u64_u32 v[5:6], s[2:3], v1, s24, 0
	v_mul_hi_u32 v8, v1, s47
	v_xor_b32_e32 v10, v7, v9
	v_add_co_u32_e32 v12, vcc, v8, v5
	v_addc_co_u32_e32 v13, vcc, 0, v6, vcc
	v_mad_u64_u32 v[5:6], s[2:3], v10, s47, 0
	v_mad_u64_u32 v[7:8], s[2:3], v10, s24, 0
	v_add_co_u32_e32 v5, vcc, v12, v5
	v_addc_co_u32_e32 v5, vcc, v13, v6, vcc
	v_addc_co_u32_e32 v6, vcc, 0, v8, vcc
	v_add_co_u32_e32 v7, vcc, v5, v7
	v_addc_co_u32_e32 v8, vcc, 0, v6, vcc
	v_mul_lo_u32 v12, s49, v7
	v_mul_lo_u32 v13, s48, v8
	v_mad_u64_u32 v[5:6], s[2:3], s48, v7, 0
	v_add3_u32 v6, v6, v13, v12
	v_sub_u32_e32 v12, v10, v6
	v_mov_b32_e32 v13, s49
	v_sub_co_u32_e32 v1, vcc, v1, v5
	v_subb_co_u32_e64 v5, s[2:3], v12, v13, vcc
	v_subrev_co_u32_e64 v12, s[2:3], s48, v1
	v_subbrev_co_u32_e64 v5, s[2:3], 0, v5, s[2:3]
	v_cmp_le_u32_e64 s[2:3], s49, v5
	v_cndmask_b32_e64 v13, 0, -1, s[2:3]
	v_cmp_le_u32_e64 s[2:3], s48, v12
	v_cndmask_b32_e64 v12, 0, -1, s[2:3]
	v_cmp_eq_u32_e64 s[2:3], s49, v5
	v_cndmask_b32_e64 v5, v13, v12, s[2:3]
	v_add_co_u32_e64 v12, s[2:3], 2, v7
	v_subb_co_u32_e32 v6, vcc, v10, v6, vcc
	v_addc_co_u32_e64 v13, s[2:3], 0, v8, s[2:3]
	v_cmp_le_u32_e32 vcc, s49, v6
	v_add_co_u32_e64 v14, s[2:3], 1, v7
	v_cndmask_b32_e64 v10, 0, -1, vcc
	v_cmp_le_u32_e32 vcc, s48, v1
	v_addc_co_u32_e64 v15, s[2:3], 0, v8, s[2:3]
	v_cndmask_b32_e64 v1, 0, -1, vcc
	v_cmp_eq_u32_e32 vcc, s49, v6
	v_cmp_ne_u32_e64 s[2:3], 0, v5
	v_cndmask_b32_e32 v1, v10, v1, vcc
	v_cndmask_b32_e64 v5, v15, v13, s[2:3]
	v_cmp_ne_u32_e32 vcc, 0, v1
	v_cndmask_b32_e32 v1, v8, v5, vcc
	v_cndmask_b32_e64 v5, v14, v12, s[2:3]
	v_cndmask_b32_e32 v5, v7, v5, vcc
	v_xor_b32_e32 v6, s46, v9
	v_xor_b32_e32 v5, v5, v6
	;; [unrolled: 1-line block ×3, first 2 shown]
	v_sub_co_u32_e32 v5, vcc, v5, v6
	v_subb_co_u32_e32 v6, vcc, v1, v6, vcc
                                        ; implicit-def: $vgpr1
.LBB6_65:
	s_andn2_saveexec_b64 s[2:3], s[44:45]
	s_cbranch_execz .LBB6_67
; %bb.66:
	v_cvt_f32_u32_e32 v5, s16
	s_sub_i32 s24, 0, s16
	v_rcp_iflag_f32_e32 v5, v5
	v_mul_f32_e32 v5, 0x4f7ffffe, v5
	v_cvt_u32_f32_e32 v5, v5
	v_mul_lo_u32 v6, s24, v5
	v_mul_hi_u32 v6, v5, v6
	v_add_u32_e32 v5, v5, v6
	v_mul_hi_u32 v5, v1, v5
	v_mul_lo_u32 v6, v5, s16
	v_add_u32_e32 v7, 1, v5
	v_sub_u32_e32 v1, v1, v6
	v_subrev_u32_e32 v6, s16, v1
	v_cmp_le_u32_e32 vcc, s16, v1
	v_cndmask_b32_e32 v1, v1, v6, vcc
	v_cndmask_b32_e32 v5, v5, v7, vcc
	v_add_u32_e32 v6, 1, v5
	v_cmp_le_u32_e32 vcc, s16, v1
	v_cndmask_b32_e32 v5, v5, v6, vcc
	v_mov_b32_e32 v6, 0
.LBB6_67:
	s_or_b64 exec, exec, s[2:3]
.LBB6_68:
	s_or_b64 exec, exec, s[42:43]
	v_or_b32_e32 v8, s17, v4
	v_mov_b32_e32 v7, 0
	v_cmp_ne_u64_e32 vcc, 0, v[7:8]
                                        ; implicit-def: $vgpr7_vgpr8
	s_and_saveexec_b64 s[2:3], vcc
	s_xor_b64 s[42:43], exec, s[2:3]
	s_cbranch_execz .LBB6_70
; %bb.69:
	s_ashr_i32 s44, s17, 31
	s_add_u32 s2, s16, s44
	s_mov_b32 s45, s44
	s_addc_u32 s3, s17, s44
	s_xor_b64 s[46:47], s[2:3], s[44:45]
	v_cvt_f32_u32_e32 v1, s46
	v_cvt_f32_u32_e32 v7, s47
	s_sub_u32 s24, 0, s46
	s_subb_u32 s45, 0, s47
	v_madmk_f32 v1, v7, 0x4f800000, v1
	v_rcp_f32_e32 v1, v1
	v_mul_f32_e32 v1, 0x5f7ffffc, v1
	v_mul_f32_e32 v7, 0x2f800000, v1
	v_trunc_f32_e32 v7, v7
	v_madmk_f32 v1, v7, 0xcf800000, v1
	v_cvt_u32_f32_e32 v7, v7
	v_cvt_u32_f32_e32 v1, v1
	v_readfirstlane_b32 s48, v7
	v_readfirstlane_b32 s2, v1
	s_mul_i32 s3, s24, s48
	s_mul_hi_u32 s52, s24, s2
	s_mul_i32 s49, s45, s2
	s_add_i32 s3, s52, s3
	s_add_i32 s3, s3, s49
	s_mul_i32 s53, s24, s2
	s_mul_i32 s52, s2, s3
	s_mul_hi_u32 s54, s2, s53
	s_mul_hi_u32 s49, s2, s3
	s_add_u32 s52, s54, s52
	s_addc_u32 s49, 0, s49
	s_mul_hi_u32 s55, s48, s53
	s_mul_i32 s53, s48, s53
	s_add_u32 s52, s52, s53
	s_mul_hi_u32 s54, s48, s3
	s_addc_u32 s49, s49, s55
	s_addc_u32 s52, s54, 0
	s_mul_i32 s3, s48, s3
	s_add_u32 s3, s49, s3
	s_addc_u32 s49, 0, s52
	s_add_u32 s52, s2, s3
	s_cselect_b64 s[2:3], -1, 0
	s_cmp_lg_u64 s[2:3], 0
	s_addc_u32 s48, s48, s49
	s_mul_i32 s2, s24, s48
	s_mul_hi_u32 s3, s24, s52
	s_add_i32 s2, s3, s2
	s_mul_i32 s45, s45, s52
	s_add_i32 s2, s2, s45
	s_mul_i32 s24, s24, s52
	s_mul_hi_u32 s45, s48, s24
	s_mul_i32 s49, s48, s24
	s_mul_i32 s54, s52, s2
	s_mul_hi_u32 s24, s52, s24
	s_mul_hi_u32 s53, s52, s2
	s_add_u32 s24, s24, s54
	s_addc_u32 s53, 0, s53
	s_add_u32 s24, s24, s49
	s_mul_hi_u32 s3, s48, s2
	s_addc_u32 s24, s53, s45
	s_addc_u32 s3, s3, 0
	s_mul_i32 s2, s48, s2
	s_add_u32 s2, s24, s2
	s_addc_u32 s24, 0, s3
	s_add_u32 s45, s52, s2
	s_cselect_b64 s[2:3], -1, 0
	v_ashrrev_i32_e32 v1, 31, v4
	s_cmp_lg_u64 s[2:3], 0
	v_add_co_u32_e32 v7, vcc, v3, v1
	s_addc_u32 s24, s48, s24
	v_xor_b32_e32 v12, v7, v1
	v_mad_u64_u32 v[7:8], s[2:3], v12, s24, 0
	v_mul_hi_u32 v10, v12, s45
	v_addc_co_u32_e32 v9, vcc, v4, v1, vcc
	v_xor_b32_e32 v13, v9, v1
	v_add_co_u32_e32 v14, vcc, v10, v7
	v_addc_co_u32_e32 v15, vcc, 0, v8, vcc
	v_mad_u64_u32 v[7:8], s[2:3], v13, s45, 0
	v_mad_u64_u32 v[9:10], s[2:3], v13, s24, 0
	v_add_co_u32_e32 v7, vcc, v14, v7
	v_addc_co_u32_e32 v7, vcc, v15, v8, vcc
	v_addc_co_u32_e32 v8, vcc, 0, v10, vcc
	v_add_co_u32_e32 v9, vcc, v7, v9
	v_addc_co_u32_e32 v10, vcc, 0, v8, vcc
	v_mul_lo_u32 v14, s47, v9
	v_mul_lo_u32 v15, s46, v10
	v_mad_u64_u32 v[7:8], s[2:3], s46, v9, 0
	v_xor_b32_e32 v1, s44, v1
	v_add3_u32 v8, v8, v15, v14
	v_sub_u32_e32 v14, v13, v8
	v_mov_b32_e32 v15, s47
	v_sub_co_u32_e32 v7, vcc, v12, v7
	v_subb_co_u32_e64 v12, s[2:3], v14, v15, vcc
	v_subrev_co_u32_e64 v14, s[2:3], s46, v7
	v_subbrev_co_u32_e64 v12, s[2:3], 0, v12, s[2:3]
	v_cmp_le_u32_e64 s[2:3], s47, v12
	v_cndmask_b32_e64 v15, 0, -1, s[2:3]
	v_cmp_le_u32_e64 s[2:3], s46, v14
	v_cndmask_b32_e64 v14, 0, -1, s[2:3]
	v_cmp_eq_u32_e64 s[2:3], s47, v12
	v_cndmask_b32_e64 v12, v15, v14, s[2:3]
	v_add_co_u32_e64 v14, s[2:3], 2, v9
	v_subb_co_u32_e32 v8, vcc, v13, v8, vcc
	v_addc_co_u32_e64 v15, s[2:3], 0, v10, s[2:3]
	v_cmp_le_u32_e32 vcc, s47, v8
	v_add_co_u32_e64 v16, s[2:3], 1, v9
	v_cndmask_b32_e64 v13, 0, -1, vcc
	v_cmp_le_u32_e32 vcc, s46, v7
	v_addc_co_u32_e64 v17, s[2:3], 0, v10, s[2:3]
	v_cndmask_b32_e64 v7, 0, -1, vcc
	v_cmp_eq_u32_e32 vcc, s47, v8
	v_cmp_ne_u32_e64 s[2:3], 0, v12
	v_cndmask_b32_e32 v7, v13, v7, vcc
	v_cndmask_b32_e64 v12, v17, v15, s[2:3]
	v_cmp_ne_u32_e32 vcc, 0, v7
	v_cndmask_b32_e64 v8, v16, v14, s[2:3]
	v_cndmask_b32_e32 v7, v10, v12, vcc
	v_cndmask_b32_e32 v8, v9, v8, vcc
	v_xor_b32_e32 v9, v7, v1
	v_xor_b32_e32 v7, v8, v1
	v_sub_co_u32_e32 v7, vcc, v7, v1
	v_subb_co_u32_e32 v8, vcc, v9, v1, vcc
.LBB6_70:
	s_andn2_saveexec_b64 s[2:3], s[42:43]
	s_cbranch_execz .LBB6_72
; %bb.71:
	v_cvt_f32_u32_e32 v1, s16
	s_sub_i32 s24, 0, s16
	v_rcp_iflag_f32_e32 v1, v1
	v_mul_f32_e32 v1, 0x4f7ffffe, v1
	v_cvt_u32_f32_e32 v1, v1
	v_mul_lo_u32 v7, s24, v1
	v_mul_hi_u32 v7, v1, v7
	v_add_u32_e32 v1, v1, v7
	v_mul_hi_u32 v1, v3, v1
	v_mul_lo_u32 v7, v1, s16
	v_add_u32_e32 v8, 1, v1
	v_sub_u32_e32 v7, v3, v7
	v_subrev_u32_e32 v9, s16, v7
	v_cmp_le_u32_e32 vcc, s16, v7
	v_cndmask_b32_e32 v7, v7, v9, vcc
	v_cndmask_b32_e32 v1, v1, v8, vcc
	v_add_u32_e32 v8, 1, v1
	v_cmp_le_u32_e32 vcc, s16, v7
	v_cndmask_b32_e32 v7, v1, v8, vcc
	v_mov_b32_e32 v8, 0
.LBB6_72:
	s_or_b64 exec, exec, s[2:3]
	v_mul_lo_u32 v1, v6, s16
	v_mul_lo_u32 v12, v5, s17
	v_mad_u64_u32 v[9:10], s[2:3], v5, s16, 0
	v_add3_u32 v10, v10, v12, v1
	v_cmp_gt_i64_e32 vcc, v[9:10], v[3:4]
	v_mov_b32_e32 v1, s15
	v_add_co_u32_e64 v9, s[2:3], s14, v9
	v_addc_co_u32_e64 v10, s[2:3], v10, v1, s[2:3]
	v_cmp_ge_i64_e64 s[2:3], v[3:4], v[9:10]
	s_or_b64 s[2:3], vcc, s[2:3]
	v_cndmask_b32_e64 v1, 0, 1, s[2:3]
	v_add_co_u32_e32 v9, vcc, v5, v1
	v_addc_co_u32_e32 v10, vcc, 0, v6, vcc
	v_cmp_gt_i64_e32 vcc, s[4:5], v[7:8]
	v_mov_b32_e32 v1, s5
	v_cndmask_b32_e32 v6, v1, v8, vcc
	v_mov_b32_e32 v1, s4
	v_cndmask_b32_e32 v5, v1, v7, vcc
	v_cmp_le_i64_e32 vcc, v[9:10], v[5:6]
	s_and_saveexec_b64 s[42:43], vcc
	s_cbranch_execz .LBB6_75
; %bb.73:
	global_load_dword v12, v2, s[8:9]
	v_mul_lo_u32 v14, s17, v9
	v_mul_lo_u32 v15, s16, v10
	v_mad_u64_u32 v[7:8], s[2:3], s16, v9, 0
	v_mov_b32_e32 v13, s9
	v_add_co_u32_e32 v1, vcc, s8, v2
	v_addc_co_u32_e32 v2, vcc, 0, v13, vcc
	v_add3_u32 v8, v8, v15, v14
	v_sub_co_u32_e32 v3, vcc, v3, v7
	v_subb_co_u32_e32 v4, vcc, v4, v8, vcc
	v_mul_lo_u32 v15, s23, v3
	v_mul_lo_u32 v16, s22, v4
	v_mad_u64_u32 v[7:8], s[2:3], s22, v3, 0
	v_mul_lo_u32 v17, s21, v9
	v_mul_lo_u32 v18, s20, v10
	v_mad_u64_u32 v[13:14], s[2:3], s20, v9, 0
	v_add_co_u32_e32 v3, vcc, -1, v9
	v_add3_u32 v8, v8, v16, v15
	v_add3_u32 v14, v14, v18, v17
	v_addc_co_u32_e32 v4, vcc, -1, v10, vcc
	v_lshlrev_b64 v[7:8], 2, v[7:8]
	v_lshlrev_b64 v[9:10], 2, v[13:14]
	s_mul_i32 s24, s16, s23
	v_add_co_u32_e32 v7, vcc, v7, v9
	s_mul_hi_u32 s44, s16, s22
	v_addc_co_u32_e32 v8, vcc, v8, v10, vcc
	s_add_i32 s24, s44, s24
	s_mul_i32 s44, s17, s22
	v_add_co_u32_e32 v0, vcc, v7, v0
	s_add_i32 s45, s24, s44
	s_mul_i32 s44, s16, s22
	v_addc_co_u32_e32 v8, vcc, 0, v8, vcc
	s_lshl_b64 s[2:3], s[20:21], 2
	s_lshl_b64 s[44:45], s[44:45], 2
	v_mov_b32_e32 v9, s11
	v_add_co_u32_e32 v7, vcc, s10, v0
	s_sub_u32 s24, s2, s44
	v_addc_co_u32_e32 v8, vcc, v9, v8, vcc
	s_subb_u32 s46, s3, s45
	s_mov_b64 s[44:45], 0
.LBB6_74:                               ; =>This Inner Loop Header: Depth=1
	global_load_dword v0, v[7:8], off
	v_add_co_u32_e32 v3, vcc, 1, v3
	v_addc_co_u32_e32 v4, vcc, 0, v4, vcc
	v_cmp_ge_i64_e64 s[2:3], v[3:4], v[5:6]
	v_mov_b32_e32 v9, s46
	v_add_co_u32_e32 v7, vcc, s24, v7
	v_addc_co_u32_e32 v8, vcc, v8, v9, vcc
	s_or_b64 s[44:45], s[2:3], s[44:45]
	s_waitcnt vmcnt(0)
	v_add_f32_e32 v12, v12, v0
	global_store_dword v[1:2], v12, off
	s_andn2_b64 exec, exec, s[44:45]
	s_cbranch_execnz .LBB6_74
.LBB6_75:
	s_or_b64 exec, exec, s[42:43]
	v_add_u32_e32 v11, 0x100, v11
	s_or_b64 exec, exec, s[18:19]
	v_cmp_gt_i32_e32 vcc, s51, v11
	s_and_saveexec_b64 s[2:3], vcc
	s_cbranch_execz .LBB6_99
.LBB6_76:
	s_and_b64 vcc, exec, s[0:1]
	s_cbranch_vccnz .LBB6_83
; %bb.77:
	v_mov_b32_e32 v2, 0
	s_andn2_b64 vcc, exec, s[40:41]
	v_mov_b32_e32 v0, 0
	v_mov_b32_e32 v4, 0
	s_cbranch_vccnz .LBB6_82
; %bb.78:
	s_add_i32 s0, s31, 1
	s_and_b32 s2, s0, 30
	s_add_u32 s0, s33, 0xffffffe8
	s_addc_u32 s1, s50, -1
	v_mov_b32_e32 v4, 0
	v_mov_b32_e32 v0, 0
	;; [unrolled: 1-line block ×4, first 2 shown]
.LBB6_79:                               ; =>This Inner Loop Header: Depth=1
	s_load_dwordx4 s[40:43], s[0:1], 0x1c
	s_load_dwordx2 s[18:19], s[0:1], 0x2c
	s_load_dwordx2 s[48:49], s[0:1], 0xec
	s_load_dwordx4 s[44:47], s[0:1], 0xdc
	s_add_u32 s0, s0, 24
	s_waitcnt lgkmcnt(0)
	v_mul_hi_u32 v3, s41, v1
	s_addc_u32 s1, s1, 0
	s_add_i32 s2, s2, -2
	s_cmp_eq_u32 s2, 0
	v_add_u32_e32 v3, v1, v3
	v_lshrrev_b32_e32 v3, s42, v3
	v_mul_lo_u32 v5, v3, s40
	v_mul_hi_u32 v6, s18, v3
	v_sub_u32_e32 v5, v1, v5
	v_add_u32_e32 v1, v3, v6
	v_lshrrev_b32_e32 v1, s19, v1
	v_mul_lo_u32 v8, v1, s43
	v_mul_lo_u32 v6, v5, s44
	;; [unrolled: 1-line block ×4, first 2 shown]
	v_sub_u32_e32 v3, v3, v8
	v_mul_lo_u32 v8, v3, s47
	v_mul_lo_u32 v9, v3, s48
	;; [unrolled: 1-line block ×3, first 2 shown]
	v_add3_u32 v2, v6, v2, v8
	v_add3_u32 v0, v7, v0, v9
	;; [unrolled: 1-line block ×3, first 2 shown]
	s_cbranch_scc0 .LBB6_79
; %bb.80:
	s_bitcmp1_b32 s31, 0
	s_cselect_b64 s[2:3], -1, 0
	s_and_b64 vcc, exec, s[2:3]
	s_cbranch_vccnz .LBB6_82
; %bb.81:
	s_load_dwordx2 s[2:3], s[0:1], 0x1c
	s_load_dword s24, s[0:1], 0x24
	s_load_dwordx2 s[18:19], s[0:1], 0xdc
	s_waitcnt lgkmcnt(0)
	v_mul_hi_u32 v3, s3, v1
	v_add_u32_e32 v3, v1, v3
	v_lshrrev_b32_e32 v3, s24, v3
	v_mul_lo_u32 v3, v3, s2
	s_load_dword s2, s[0:1], 0xe4
	v_sub_u32_e32 v5, v1, v3
	v_mad_u64_u32 v[2:3], s[0:1], v5, s18, v[2:3]
	v_mad_u64_u32 v[0:1], s[0:1], v5, s19, v[0:1]
	s_waitcnt lgkmcnt(0)
	v_mad_u64_u32 v[4:5], s[0:1], v5, s2, v[4:5]
.LBB6_82:
	s_cbranch_execz .LBB6_84
	s_branch .LBB6_86
.LBB6_83:
                                        ; implicit-def: $vgpr2
                                        ; implicit-def: $vgpr0
                                        ; implicit-def: $vgpr4
.LBB6_84:
	v_mul_hi_u32 v0, s26, v11
	s_andn2_b64 vcc, exec, s[34:35]
	v_add_u32_e32 v0, v11, v0
	v_lshrrev_b32_e32 v1, s27, v0
	v_mul_lo_u32 v0, v1, s25
	v_sub_u32_e32 v3, v11, v0
	v_mul_lo_u32 v2, v3, s36
	v_mul_lo_u32 v0, v3, s37
	;; [unrolled: 1-line block ×3, first 2 shown]
	s_cbranch_vccnz .LBB6_86
; %bb.85:
	v_mul_hi_u32 v3, s29, v1
	v_add_u32_e32 v3, v1, v3
	v_lshrrev_b32_e32 v3, s30, v3
	v_mul_lo_u32 v3, v3, s28
	v_sub_u32_e32 v5, v1, v3
	v_mad_u64_u32 v[2:3], s[0:1], v5, s39, v[2:3]
	v_mad_u64_u32 v[0:1], s[0:1], v5, s6, v[0:1]
	;; [unrolled: 1-line block ×3, first 2 shown]
.LBB6_86:
	global_load_dwordx2 v[3:4], v4, s[12:13]
	v_mov_b32_e32 v5, 0
	v_mov_b32_e32 v6, 0
	s_waitcnt vmcnt(0)
	v_cmp_lt_i64_e32 vcc, s[14:15], v[3:4]
	s_and_saveexec_b64 s[2:3], vcc
	s_cbranch_execz .LBB6_92
; %bb.87:
	v_mov_b32_e32 v5, s15
	v_subrev_co_u32_e32 v1, vcc, s14, v3
	v_subb_co_u32_e32 v7, vcc, v4, v5, vcc
	v_or_b32_e32 v6, s17, v7
	v_mov_b32_e32 v5, 0
	v_cmp_ne_u64_e32 vcc, 0, v[5:6]
                                        ; implicit-def: $vgpr5_vgpr6
	s_and_saveexec_b64 s[0:1], vcc
	s_xor_b64 s[6:7], exec, s[0:1]
	s_cbranch_execz .LBB6_89
; %bb.88:
	s_ashr_i32 s12, s17, 31
	s_add_u32 s0, s16, s12
	s_mov_b32 s13, s12
	s_addc_u32 s1, s17, s12
	s_xor_b64 s[18:19], s[0:1], s[12:13]
	v_cvt_f32_u32_e32 v5, s18
	v_cvt_f32_u32_e32 v6, s19
	s_sub_u32 s13, 0, s18
	s_subb_u32 s24, 0, s19
	v_ashrrev_i32_e32 v9, 31, v7
	v_madmk_f32 v5, v6, 0x4f800000, v5
	v_rcp_f32_e32 v5, v5
	v_add_co_u32_e32 v1, vcc, v1, v9
	v_xor_b32_e32 v1, v1, v9
	v_mul_f32_e32 v5, 0x5f7ffffc, v5
	v_mul_f32_e32 v6, 0x2f800000, v5
	v_trunc_f32_e32 v6, v6
	v_madmk_f32 v5, v6, 0xcf800000, v5
	v_cvt_u32_f32_e32 v6, v6
	v_cvt_u32_f32_e32 v5, v5
	v_addc_co_u32_e32 v7, vcc, v7, v9, vcc
	v_readfirstlane_b32 s25, v6
	v_readfirstlane_b32 s0, v5
	s_mul_i32 s1, s13, s25
	s_mul_hi_u32 s27, s13, s0
	s_mul_i32 s26, s24, s0
	s_add_i32 s1, s27, s1
	s_add_i32 s1, s1, s26
	s_mul_i32 s28, s13, s0
	s_mul_i32 s27, s0, s1
	s_mul_hi_u32 s29, s0, s28
	s_mul_hi_u32 s26, s0, s1
	s_add_u32 s27, s29, s27
	s_addc_u32 s26, 0, s26
	s_mul_hi_u32 s30, s25, s28
	s_mul_i32 s28, s25, s28
	s_add_u32 s27, s27, s28
	s_mul_hi_u32 s29, s25, s1
	s_addc_u32 s26, s26, s30
	s_addc_u32 s27, s29, 0
	s_mul_i32 s1, s25, s1
	s_add_u32 s1, s26, s1
	s_addc_u32 s26, 0, s27
	s_add_u32 s27, s0, s1
	s_cselect_b64 s[0:1], -1, 0
	s_cmp_lg_u64 s[0:1], 0
	s_addc_u32 s25, s25, s26
	s_mul_i32 s0, s13, s25
	s_mul_hi_u32 s1, s13, s27
	s_add_i32 s0, s1, s0
	s_mul_i32 s24, s24, s27
	s_add_i32 s0, s0, s24
	s_mul_i32 s13, s13, s27
	s_mul_hi_u32 s24, s25, s13
	s_mul_i32 s26, s25, s13
	s_mul_i32 s29, s27, s0
	s_mul_hi_u32 s13, s27, s13
	s_mul_hi_u32 s28, s27, s0
	s_add_u32 s13, s13, s29
	s_addc_u32 s28, 0, s28
	s_add_u32 s13, s13, s26
	s_mul_hi_u32 s1, s25, s0
	s_addc_u32 s13, s28, s24
	s_addc_u32 s1, s1, 0
	s_mul_i32 s0, s25, s0
	s_add_u32 s0, s13, s0
	s_addc_u32 s13, 0, s1
	s_add_u32 s24, s27, s0
	s_cselect_b64 s[0:1], -1, 0
	s_cmp_lg_u64 s[0:1], 0
	s_addc_u32 s13, s25, s13
	v_mad_u64_u32 v[5:6], s[0:1], v1, s13, 0
	v_mul_hi_u32 v8, v1, s24
	v_xor_b32_e32 v10, v7, v9
	v_add_co_u32_e32 v11, vcc, v8, v5
	v_addc_co_u32_e32 v12, vcc, 0, v6, vcc
	v_mad_u64_u32 v[5:6], s[0:1], v10, s24, 0
	v_mad_u64_u32 v[7:8], s[0:1], v10, s13, 0
	v_add_co_u32_e32 v5, vcc, v11, v5
	v_addc_co_u32_e32 v5, vcc, v12, v6, vcc
	v_addc_co_u32_e32 v6, vcc, 0, v8, vcc
	v_add_co_u32_e32 v7, vcc, v5, v7
	v_addc_co_u32_e32 v8, vcc, 0, v6, vcc
	v_mul_lo_u32 v11, s19, v7
	v_mul_lo_u32 v12, s18, v8
	v_mad_u64_u32 v[5:6], s[0:1], s18, v7, 0
	v_add3_u32 v6, v6, v12, v11
	v_sub_u32_e32 v11, v10, v6
	v_mov_b32_e32 v12, s19
	v_sub_co_u32_e32 v1, vcc, v1, v5
	v_subb_co_u32_e64 v5, s[0:1], v11, v12, vcc
	v_subrev_co_u32_e64 v11, s[0:1], s18, v1
	v_subbrev_co_u32_e64 v5, s[0:1], 0, v5, s[0:1]
	v_cmp_le_u32_e64 s[0:1], s19, v5
	v_cndmask_b32_e64 v12, 0, -1, s[0:1]
	v_cmp_le_u32_e64 s[0:1], s18, v11
	v_cndmask_b32_e64 v11, 0, -1, s[0:1]
	v_cmp_eq_u32_e64 s[0:1], s19, v5
	v_cndmask_b32_e64 v5, v12, v11, s[0:1]
	v_add_co_u32_e64 v11, s[0:1], 2, v7
	v_subb_co_u32_e32 v6, vcc, v10, v6, vcc
	v_addc_co_u32_e64 v12, s[0:1], 0, v8, s[0:1]
	v_cmp_le_u32_e32 vcc, s19, v6
	v_add_co_u32_e64 v13, s[0:1], 1, v7
	v_cndmask_b32_e64 v10, 0, -1, vcc
	v_cmp_le_u32_e32 vcc, s18, v1
	v_addc_co_u32_e64 v14, s[0:1], 0, v8, s[0:1]
	v_cndmask_b32_e64 v1, 0, -1, vcc
	v_cmp_eq_u32_e32 vcc, s19, v6
	v_cmp_ne_u32_e64 s[0:1], 0, v5
	v_cndmask_b32_e32 v1, v10, v1, vcc
	v_cndmask_b32_e64 v5, v14, v12, s[0:1]
	v_cmp_ne_u32_e32 vcc, 0, v1
	v_cndmask_b32_e32 v1, v8, v5, vcc
	v_cndmask_b32_e64 v5, v13, v11, s[0:1]
	v_cndmask_b32_e32 v5, v7, v5, vcc
	v_xor_b32_e32 v6, s12, v9
	v_xor_b32_e32 v5, v5, v6
	;; [unrolled: 1-line block ×3, first 2 shown]
	v_sub_co_u32_e32 v5, vcc, v5, v6
	v_subb_co_u32_e32 v6, vcc, v1, v6, vcc
                                        ; implicit-def: $vgpr1
.LBB6_89:
	s_andn2_saveexec_b64 s[0:1], s[6:7]
	s_cbranch_execz .LBB6_91
; %bb.90:
	v_cvt_f32_u32_e32 v5, s16
	s_sub_i32 s6, 0, s16
	v_rcp_iflag_f32_e32 v5, v5
	v_mul_f32_e32 v5, 0x4f7ffffe, v5
	v_cvt_u32_f32_e32 v5, v5
	v_mul_lo_u32 v6, s6, v5
	v_mul_hi_u32 v6, v5, v6
	v_add_u32_e32 v5, v5, v6
	v_mul_hi_u32 v5, v1, v5
	v_mul_lo_u32 v6, v5, s16
	v_add_u32_e32 v7, 1, v5
	v_sub_u32_e32 v1, v1, v6
	v_subrev_u32_e32 v6, s16, v1
	v_cmp_le_u32_e32 vcc, s16, v1
	v_cndmask_b32_e32 v1, v1, v6, vcc
	v_cndmask_b32_e32 v5, v5, v7, vcc
	v_add_u32_e32 v6, 1, v5
	v_cmp_le_u32_e32 vcc, s16, v1
	v_cndmask_b32_e32 v5, v5, v6, vcc
	v_mov_b32_e32 v6, 0
.LBB6_91:
	s_or_b64 exec, exec, s[0:1]
.LBB6_92:
	s_or_b64 exec, exec, s[2:3]
	v_or_b32_e32 v8, s17, v4
	v_mov_b32_e32 v7, 0
	v_cmp_ne_u64_e32 vcc, 0, v[7:8]
                                        ; implicit-def: $vgpr7_vgpr8
	s_and_saveexec_b64 s[0:1], vcc
	s_xor_b64 s[2:3], exec, s[0:1]
	s_cbranch_execz .LBB6_94
; %bb.93:
	s_ashr_i32 s6, s17, 31
	s_add_u32 s0, s16, s6
	s_mov_b32 s7, s6
	s_addc_u32 s1, s17, s6
	s_xor_b64 s[12:13], s[0:1], s[6:7]
	v_cvt_f32_u32_e32 v1, s12
	v_cvt_f32_u32_e32 v7, s13
	s_sub_u32 s7, 0, s12
	s_subb_u32 s18, 0, s13
	v_madmk_f32 v1, v7, 0x4f800000, v1
	v_rcp_f32_e32 v1, v1
	v_mul_f32_e32 v1, 0x5f7ffffc, v1
	v_mul_f32_e32 v7, 0x2f800000, v1
	v_trunc_f32_e32 v7, v7
	v_madmk_f32 v1, v7, 0xcf800000, v1
	v_cvt_u32_f32_e32 v7, v7
	v_cvt_u32_f32_e32 v1, v1
	v_readfirstlane_b32 s19, v7
	v_readfirstlane_b32 s0, v1
	s_mul_i32 s1, s7, s19
	s_mul_hi_u32 s25, s7, s0
	s_mul_i32 s24, s18, s0
	s_add_i32 s1, s25, s1
	s_add_i32 s1, s1, s24
	s_mul_i32 s26, s7, s0
	s_mul_i32 s25, s0, s1
	s_mul_hi_u32 s27, s0, s26
	s_mul_hi_u32 s24, s0, s1
	s_add_u32 s25, s27, s25
	s_addc_u32 s24, 0, s24
	s_mul_hi_u32 s28, s19, s26
	s_mul_i32 s26, s19, s26
	s_add_u32 s25, s25, s26
	s_mul_hi_u32 s27, s19, s1
	s_addc_u32 s24, s24, s28
	s_addc_u32 s25, s27, 0
	s_mul_i32 s1, s19, s1
	s_add_u32 s1, s24, s1
	s_addc_u32 s24, 0, s25
	s_add_u32 s25, s0, s1
	s_cselect_b64 s[0:1], -1, 0
	s_cmp_lg_u64 s[0:1], 0
	s_addc_u32 s19, s19, s24
	s_mul_i32 s0, s7, s19
	s_mul_hi_u32 s1, s7, s25
	s_add_i32 s0, s1, s0
	s_mul_i32 s18, s18, s25
	s_add_i32 s0, s0, s18
	s_mul_i32 s7, s7, s25
	s_mul_hi_u32 s18, s19, s7
	s_mul_i32 s24, s19, s7
	s_mul_i32 s27, s25, s0
	s_mul_hi_u32 s7, s25, s7
	s_mul_hi_u32 s26, s25, s0
	s_add_u32 s7, s7, s27
	s_addc_u32 s26, 0, s26
	s_add_u32 s7, s7, s24
	s_mul_hi_u32 s1, s19, s0
	s_addc_u32 s7, s26, s18
	s_addc_u32 s1, s1, 0
	s_mul_i32 s0, s19, s0
	s_add_u32 s0, s7, s0
	s_addc_u32 s7, 0, s1
	s_add_u32 s18, s25, s0
	s_cselect_b64 s[0:1], -1, 0
	v_ashrrev_i32_e32 v1, 31, v4
	s_cmp_lg_u64 s[0:1], 0
	v_add_co_u32_e32 v7, vcc, v3, v1
	s_addc_u32 s7, s19, s7
	v_xor_b32_e32 v11, v7, v1
	v_mad_u64_u32 v[7:8], s[0:1], v11, s7, 0
	v_mul_hi_u32 v10, v11, s18
	v_addc_co_u32_e32 v9, vcc, v4, v1, vcc
	v_xor_b32_e32 v12, v9, v1
	v_add_co_u32_e32 v13, vcc, v10, v7
	v_addc_co_u32_e32 v14, vcc, 0, v8, vcc
	v_mad_u64_u32 v[7:8], s[0:1], v12, s18, 0
	v_mad_u64_u32 v[9:10], s[0:1], v12, s7, 0
	v_add_co_u32_e32 v7, vcc, v13, v7
	v_addc_co_u32_e32 v7, vcc, v14, v8, vcc
	v_addc_co_u32_e32 v8, vcc, 0, v10, vcc
	v_add_co_u32_e32 v9, vcc, v7, v9
	v_addc_co_u32_e32 v10, vcc, 0, v8, vcc
	v_mul_lo_u32 v13, s13, v9
	v_mul_lo_u32 v14, s12, v10
	v_mad_u64_u32 v[7:8], s[0:1], s12, v9, 0
	v_xor_b32_e32 v1, s6, v1
	v_add3_u32 v8, v8, v14, v13
	v_sub_u32_e32 v13, v12, v8
	v_mov_b32_e32 v14, s13
	v_sub_co_u32_e32 v7, vcc, v11, v7
	v_subb_co_u32_e64 v11, s[0:1], v13, v14, vcc
	v_subrev_co_u32_e64 v13, s[0:1], s12, v7
	v_subbrev_co_u32_e64 v11, s[0:1], 0, v11, s[0:1]
	v_cmp_le_u32_e64 s[0:1], s13, v11
	v_cndmask_b32_e64 v14, 0, -1, s[0:1]
	v_cmp_le_u32_e64 s[0:1], s12, v13
	v_cndmask_b32_e64 v13, 0, -1, s[0:1]
	v_cmp_eq_u32_e64 s[0:1], s13, v11
	v_cndmask_b32_e64 v11, v14, v13, s[0:1]
	v_add_co_u32_e64 v13, s[0:1], 2, v9
	v_subb_co_u32_e32 v8, vcc, v12, v8, vcc
	v_addc_co_u32_e64 v14, s[0:1], 0, v10, s[0:1]
	v_cmp_le_u32_e32 vcc, s13, v8
	v_add_co_u32_e64 v15, s[0:1], 1, v9
	v_cndmask_b32_e64 v12, 0, -1, vcc
	v_cmp_le_u32_e32 vcc, s12, v7
	v_addc_co_u32_e64 v16, s[0:1], 0, v10, s[0:1]
	v_cndmask_b32_e64 v7, 0, -1, vcc
	v_cmp_eq_u32_e32 vcc, s13, v8
	v_cmp_ne_u32_e64 s[0:1], 0, v11
	v_cndmask_b32_e32 v7, v12, v7, vcc
	v_cndmask_b32_e64 v11, v16, v14, s[0:1]
	v_cmp_ne_u32_e32 vcc, 0, v7
	v_cndmask_b32_e64 v8, v15, v13, s[0:1]
	v_cndmask_b32_e32 v7, v10, v11, vcc
	v_cndmask_b32_e32 v8, v9, v8, vcc
	v_xor_b32_e32 v9, v7, v1
	v_xor_b32_e32 v7, v8, v1
	v_sub_co_u32_e32 v7, vcc, v7, v1
	v_subb_co_u32_e32 v8, vcc, v9, v1, vcc
.LBB6_94:
	s_andn2_saveexec_b64 s[0:1], s[2:3]
	s_cbranch_execz .LBB6_96
; %bb.95:
	v_cvt_f32_u32_e32 v1, s16
	s_sub_i32 s2, 0, s16
	v_rcp_iflag_f32_e32 v1, v1
	v_mul_f32_e32 v1, 0x4f7ffffe, v1
	v_cvt_u32_f32_e32 v1, v1
	v_mul_lo_u32 v7, s2, v1
	v_mul_hi_u32 v7, v1, v7
	v_add_u32_e32 v1, v1, v7
	v_mul_hi_u32 v1, v3, v1
	v_mul_lo_u32 v7, v1, s16
	v_add_u32_e32 v8, 1, v1
	v_sub_u32_e32 v7, v3, v7
	v_subrev_u32_e32 v9, s16, v7
	v_cmp_le_u32_e32 vcc, s16, v7
	v_cndmask_b32_e32 v7, v7, v9, vcc
	v_cndmask_b32_e32 v1, v1, v8, vcc
	v_add_u32_e32 v8, 1, v1
	v_cmp_le_u32_e32 vcc, s16, v7
	v_cndmask_b32_e32 v7, v1, v8, vcc
	v_mov_b32_e32 v8, 0
.LBB6_96:
	s_or_b64 exec, exec, s[0:1]
	v_mul_lo_u32 v1, v6, s16
	v_mul_lo_u32 v11, v5, s17
	v_mad_u64_u32 v[9:10], s[0:1], v5, s16, 0
	v_add3_u32 v10, v10, v11, v1
	v_cmp_gt_i64_e32 vcc, v[9:10], v[3:4]
	v_mov_b32_e32 v1, s15
	v_add_co_u32_e64 v9, s[0:1], s14, v9
	v_addc_co_u32_e64 v10, s[0:1], v10, v1, s[0:1]
	v_cmp_ge_i64_e64 s[0:1], v[3:4], v[9:10]
	s_or_b64 s[0:1], vcc, s[0:1]
	v_cndmask_b32_e64 v1, 0, 1, s[0:1]
	v_add_co_u32_e32 v9, vcc, v5, v1
	v_addc_co_u32_e32 v10, vcc, 0, v6, vcc
	v_cmp_gt_i64_e32 vcc, s[4:5], v[7:8]
	v_mov_b32_e32 v1, s5
	v_cndmask_b32_e32 v6, v1, v8, vcc
	v_mov_b32_e32 v1, s4
	v_cndmask_b32_e32 v5, v1, v7, vcc
	v_cmp_le_i64_e32 vcc, v[9:10], v[5:6]
	s_and_b64 exec, exec, vcc
	s_cbranch_execz .LBB6_99
; %bb.97:
	global_load_dword v11, v2, s[8:9]
	v_mul_lo_u32 v13, s17, v9
	v_mul_lo_u32 v14, s16, v10
	v_mad_u64_u32 v[7:8], s[0:1], s16, v9, 0
	v_mov_b32_e32 v12, s9
	v_add_co_u32_e32 v1, vcc, s8, v2
	v_addc_co_u32_e32 v2, vcc, 0, v12, vcc
	v_add3_u32 v8, v8, v14, v13
	v_sub_co_u32_e32 v3, vcc, v3, v7
	v_subb_co_u32_e32 v4, vcc, v4, v8, vcc
	v_mul_lo_u32 v14, s23, v3
	v_mul_lo_u32 v15, s22, v4
	v_mad_u64_u32 v[7:8], s[0:1], s22, v3, 0
	v_mul_lo_u32 v16, s21, v9
	v_mul_lo_u32 v17, s20, v10
	v_mad_u64_u32 v[12:13], s[0:1], s20, v9, 0
	v_add_co_u32_e32 v3, vcc, -1, v9
	v_add3_u32 v8, v8, v15, v14
	v_add3_u32 v13, v13, v17, v16
	v_addc_co_u32_e32 v4, vcc, -1, v10, vcc
	v_lshlrev_b64 v[7:8], 2, v[7:8]
	v_lshlrev_b64 v[9:10], 2, v[12:13]
	s_mul_i32 s2, s16, s23
	v_add_co_u32_e32 v7, vcc, v7, v9
	s_mul_hi_u32 s3, s16, s22
	v_addc_co_u32_e32 v8, vcc, v8, v10, vcc
	s_add_i32 s2, s3, s2
	s_mul_i32 s3, s17, s22
	v_add_co_u32_e32 v0, vcc, v7, v0
	s_add_i32 s3, s2, s3
	s_mul_i32 s2, s16, s22
	v_addc_co_u32_e32 v8, vcc, 0, v8, vcc
	s_lshl_b64 s[0:1], s[20:21], 2
	s_lshl_b64 s[2:3], s[2:3], 2
	v_mov_b32_e32 v9, s11
	v_add_co_u32_e32 v7, vcc, s10, v0
	s_sub_u32 s4, s0, s2
	v_addc_co_u32_e32 v8, vcc, v9, v8, vcc
	s_subb_u32 s5, s1, s3
	s_mov_b64 s[2:3], 0
.LBB6_98:                               ; =>This Inner Loop Header: Depth=1
	global_load_dword v0, v[7:8], off
	v_add_co_u32_e32 v3, vcc, 1, v3
	v_addc_co_u32_e32 v4, vcc, 0, v4, vcc
	v_cmp_ge_i64_e64 s[0:1], v[3:4], v[5:6]
	v_mov_b32_e32 v9, s5
	v_add_co_u32_e32 v7, vcc, s4, v7
	v_addc_co_u32_e32 v8, vcc, v8, v9, vcc
	s_or_b64 s[2:3], s[0:1], s[2:3]
	s_waitcnt vmcnt(0)
	v_add_f32_e32 v11, v11, v0
	global_store_dword v[1:2], v11, off
	s_andn2_b64 exec, exec, s[2:3]
	s_cbranch_execnz .LBB6_98
.LBB6_99:
	s_endpgm
	.section	.rodata,"a",@progbits
	.p2align	6, 0x0
	.amdhsa_kernel _ZN2at6native12_GLOBAL__N_135_unfold_backward_elementwise_kernelILi256ELi4EZNS1_32_unfold_backward_internal_kernelIfEEvRNS_14TensorIteratorEllllllEUliE_EEviT1_
		.amdhsa_group_segment_fixed_size 0
		.amdhsa_private_segment_fixed_size 0
		.amdhsa_kernarg_size 464
		.amdhsa_user_sgpr_count 6
		.amdhsa_user_sgpr_private_segment_buffer 1
		.amdhsa_user_sgpr_dispatch_ptr 0
		.amdhsa_user_sgpr_queue_ptr 0
		.amdhsa_user_sgpr_kernarg_segment_ptr 1
		.amdhsa_user_sgpr_dispatch_id 0
		.amdhsa_user_sgpr_flat_scratch_init 0
		.amdhsa_user_sgpr_private_segment_size 0
		.amdhsa_uses_dynamic_stack 0
		.amdhsa_system_sgpr_private_segment_wavefront_offset 0
		.amdhsa_system_sgpr_workgroup_id_x 1
		.amdhsa_system_sgpr_workgroup_id_y 0
		.amdhsa_system_sgpr_workgroup_id_z 0
		.amdhsa_system_sgpr_workgroup_info 0
		.amdhsa_system_vgpr_workitem_id 0
		.amdhsa_next_free_vgpr 19
		.amdhsa_next_free_sgpr 58
		.amdhsa_reserve_vcc 1
		.amdhsa_reserve_flat_scratch 0
		.amdhsa_float_round_mode_32 0
		.amdhsa_float_round_mode_16_64 0
		.amdhsa_float_denorm_mode_32 3
		.amdhsa_float_denorm_mode_16_64 3
		.amdhsa_dx10_clamp 1
		.amdhsa_ieee_mode 1
		.amdhsa_fp16_overflow 0
		.amdhsa_exception_fp_ieee_invalid_op 0
		.amdhsa_exception_fp_denorm_src 0
		.amdhsa_exception_fp_ieee_div_zero 0
		.amdhsa_exception_fp_ieee_overflow 0
		.amdhsa_exception_fp_ieee_underflow 0
		.amdhsa_exception_fp_ieee_inexact 0
		.amdhsa_exception_int_div_zero 0
	.end_amdhsa_kernel
	.section	.text._ZN2at6native12_GLOBAL__N_135_unfold_backward_elementwise_kernelILi256ELi4EZNS1_32_unfold_backward_internal_kernelIfEEvRNS_14TensorIteratorEllllllEUliE_EEviT1_,"axG",@progbits,_ZN2at6native12_GLOBAL__N_135_unfold_backward_elementwise_kernelILi256ELi4EZNS1_32_unfold_backward_internal_kernelIfEEvRNS_14TensorIteratorEllllllEUliE_EEviT1_,comdat
.Lfunc_end6:
	.size	_ZN2at6native12_GLOBAL__N_135_unfold_backward_elementwise_kernelILi256ELi4EZNS1_32_unfold_backward_internal_kernelIfEEvRNS_14TensorIteratorEllllllEUliE_EEviT1_, .Lfunc_end6-_ZN2at6native12_GLOBAL__N_135_unfold_backward_elementwise_kernelILi256ELi4EZNS1_32_unfold_backward_internal_kernelIfEEvRNS_14TensorIteratorEllllllEUliE_EEviT1_
                                        ; -- End function
	.set _ZN2at6native12_GLOBAL__N_135_unfold_backward_elementwise_kernelILi256ELi4EZNS1_32_unfold_backward_internal_kernelIfEEvRNS_14TensorIteratorEllllllEUliE_EEviT1_.num_vgpr, 19
	.set _ZN2at6native12_GLOBAL__N_135_unfold_backward_elementwise_kernelILi256ELi4EZNS1_32_unfold_backward_internal_kernelIfEEvRNS_14TensorIteratorEllllllEUliE_EEviT1_.num_agpr, 0
	.set _ZN2at6native12_GLOBAL__N_135_unfold_backward_elementwise_kernelILi256ELi4EZNS1_32_unfold_backward_internal_kernelIfEEvRNS_14TensorIteratorEllllllEUliE_EEviT1_.numbered_sgpr, 58
	.set _ZN2at6native12_GLOBAL__N_135_unfold_backward_elementwise_kernelILi256ELi4EZNS1_32_unfold_backward_internal_kernelIfEEvRNS_14TensorIteratorEllllllEUliE_EEviT1_.num_named_barrier, 0
	.set _ZN2at6native12_GLOBAL__N_135_unfold_backward_elementwise_kernelILi256ELi4EZNS1_32_unfold_backward_internal_kernelIfEEvRNS_14TensorIteratorEllllllEUliE_EEviT1_.private_seg_size, 0
	.set _ZN2at6native12_GLOBAL__N_135_unfold_backward_elementwise_kernelILi256ELi4EZNS1_32_unfold_backward_internal_kernelIfEEvRNS_14TensorIteratorEllllllEUliE_EEviT1_.uses_vcc, 1
	.set _ZN2at6native12_GLOBAL__N_135_unfold_backward_elementwise_kernelILi256ELi4EZNS1_32_unfold_backward_internal_kernelIfEEvRNS_14TensorIteratorEllllllEUliE_EEviT1_.uses_flat_scratch, 0
	.set _ZN2at6native12_GLOBAL__N_135_unfold_backward_elementwise_kernelILi256ELi4EZNS1_32_unfold_backward_internal_kernelIfEEvRNS_14TensorIteratorEllllllEUliE_EEviT1_.has_dyn_sized_stack, 0
	.set _ZN2at6native12_GLOBAL__N_135_unfold_backward_elementwise_kernelILi256ELi4EZNS1_32_unfold_backward_internal_kernelIfEEvRNS_14TensorIteratorEllllllEUliE_EEviT1_.has_recursion, 0
	.set _ZN2at6native12_GLOBAL__N_135_unfold_backward_elementwise_kernelILi256ELi4EZNS1_32_unfold_backward_internal_kernelIfEEvRNS_14TensorIteratorEllllllEUliE_EEviT1_.has_indirect_call, 0
	.section	.AMDGPU.csdata,"",@progbits
; Kernel info:
; codeLenInByte = 9960
; TotalNumSgprs: 62
; NumVgprs: 19
; ScratchSize: 0
; MemoryBound: 0
; FloatMode: 240
; IeeeMode: 1
; LDSByteSize: 0 bytes/workgroup (compile time only)
; SGPRBlocks: 7
; VGPRBlocks: 4
; NumSGPRsForWavesPerEU: 62
; NumVGPRsForWavesPerEU: 19
; Occupancy: 10
; WaveLimiterHint : 1
; COMPUTE_PGM_RSRC2:SCRATCH_EN: 0
; COMPUTE_PGM_RSRC2:USER_SGPR: 6
; COMPUTE_PGM_RSRC2:TRAP_HANDLER: 0
; COMPUTE_PGM_RSRC2:TGID_X_EN: 1
; COMPUTE_PGM_RSRC2:TGID_Y_EN: 0
; COMPUTE_PGM_RSRC2:TGID_Z_EN: 0
; COMPUTE_PGM_RSRC2:TIDIG_COMP_CNT: 0
	.section	.text._ZN2at6native12_GLOBAL__N_135_unfold_backward_elementwise_kernelILi256ELi4EZNS1_32_unfold_backward_internal_kernelIN3c107complexIdEEEEvRNS_14TensorIteratorEllllllEUliE_EEviT1_,"axG",@progbits,_ZN2at6native12_GLOBAL__N_135_unfold_backward_elementwise_kernelILi256ELi4EZNS1_32_unfold_backward_internal_kernelIN3c107complexIdEEEEvRNS_14TensorIteratorEllllllEUliE_EEviT1_,comdat
	.globl	_ZN2at6native12_GLOBAL__N_135_unfold_backward_elementwise_kernelILi256ELi4EZNS1_32_unfold_backward_internal_kernelIN3c107complexIdEEEEvRNS_14TensorIteratorEllllllEUliE_EEviT1_ ; -- Begin function _ZN2at6native12_GLOBAL__N_135_unfold_backward_elementwise_kernelILi256ELi4EZNS1_32_unfold_backward_internal_kernelIN3c107complexIdEEEEvRNS_14TensorIteratorEllllllEUliE_EEviT1_
	.p2align	8
	.type	_ZN2at6native12_GLOBAL__N_135_unfold_backward_elementwise_kernelILi256ELi4EZNS1_32_unfold_backward_internal_kernelIN3c107complexIdEEEEvRNS_14TensorIteratorEllllllEUliE_EEviT1_,@function
_ZN2at6native12_GLOBAL__N_135_unfold_backward_elementwise_kernelILi256ELi4EZNS1_32_unfold_backward_internal_kernelIN3c107complexIdEEEEvRNS_14TensorIteratorEllllllEUliE_EEviT1_: ; @_ZN2at6native12_GLOBAL__N_135_unfold_backward_elementwise_kernelILi256ELi4EZNS1_32_unfold_backward_internal_kernelIN3c107complexIdEEEEvRNS_14TensorIteratorEllllllEUliE_EEviT1_
; %bb.0:
	s_load_dword s51, s[4:5], 0x0
	s_load_dwordx8 s[24:31], s[4:5], 0x8
	s_add_u32 s33, s4, 8
	v_lshl_or_b32 v13, s6, 10, v0
	s_addc_u32 s50, s5, 0
	s_load_dwordx16 s[8:23], s[4:5], 0x190
	s_load_dwordx4 s[36:39], s[4:5], 0xcc
	s_load_dwordx2 s[6:7], s[4:5], 0xdc
	s_waitcnt lgkmcnt(0)
	v_sub_co_u32_e64 v0, s[0:1], s24, 1
	s_xor_b64 s[40:41], s[0:1], -1
	v_readfirstlane_b32 s0, v0
	s_min_u32 s31, s0, 15
	s_cmp_gt_u32 s24, 1
	v_cmp_lt_u32_e64 s[0:1], 1, v0
	s_cselect_b64 s[34:35], -1, 0
	s_add_u32 s4, s18, -1
	v_cndmask_b32_e64 v0, 0, 1, s[0:1]
	s_mov_b64 s[2:3], -1
	s_addc_u32 s5, s19, -1
	v_cmp_gt_i32_e32 vcc, s51, v13
	v_cmp_ne_u32_e64 s[0:1], 1, v0
	s_and_saveexec_b64 s[18:19], vcc
	s_cbranch_execnz .LBB7_4
; %bb.1:
	s_or_b64 exec, exec, s[18:19]
	v_cmp_gt_i32_e32 vcc, s51, v13
	s_and_saveexec_b64 s[18:19], vcc
	s_cbranch_execnz .LBB7_28
.LBB7_2:
	s_or_b64 exec, exec, s[18:19]
	v_cmp_gt_i32_e32 vcc, s51, v13
	s_and_saveexec_b64 s[18:19], vcc
	s_cbranch_execnz .LBB7_52
.LBB7_3:
	s_or_b64 exec, exec, s[18:19]
	v_cmp_gt_i32_e32 vcc, s51, v13
	s_and_saveexec_b64 s[2:3], vcc
	s_cbranch_execnz .LBB7_76
	s_branch .LBB7_99
.LBB7_4:
	s_and_b64 vcc, exec, s[0:1]
                                        ; implicit-def: $vgpr6
                                        ; implicit-def: $vgpr4
                                        ; implicit-def: $vgpr0
	s_cbranch_vccnz .LBB7_11
; %bb.5:
	v_mov_b32_e32 v6, 0
	s_andn2_b64 vcc, exec, s[40:41]
	v_mov_b32_e32 v4, 0
	v_mov_b32_e32 v0, 0
	s_cbranch_vccnz .LBB7_10
; %bb.6:
	s_add_i32 s2, s31, 1
	s_and_b32 s24, s2, 30
	s_add_u32 s2, s33, 0xffffffe8
	s_addc_u32 s3, s50, -1
	v_mov_b32_e32 v0, 0
	v_mov_b32_e32 v4, 0
	;; [unrolled: 1-line block ×4, first 2 shown]
.LBB7_7:                                ; =>This Inner Loop Header: Depth=1
	s_load_dwordx4 s[44:47], s[2:3], 0x1c
	s_load_dwordx2 s[42:43], s[2:3], 0x2c
	s_load_dwordx2 s[48:49], s[2:3], 0xec
	s_load_dwordx4 s[52:55], s[2:3], 0xdc
	s_add_u32 s2, s2, 24
	s_waitcnt lgkmcnt(0)
	v_mul_hi_u32 v2, s45, v1
	s_addc_u32 s3, s3, 0
	s_add_i32 s24, s24, -2
	s_cmp_lg_u32 s24, 0
	v_add_u32_e32 v2, v1, v2
	v_lshrrev_b32_e32 v2, s46, v2
	v_mul_lo_u32 v3, v2, s44
	v_mul_hi_u32 v5, s42, v2
	v_sub_u32_e32 v3, v1, v3
	v_add_u32_e32 v1, v2, v5
	v_lshrrev_b32_e32 v1, s43, v1
	v_mul_lo_u32 v8, v1, s47
	v_mul_lo_u32 v5, v3, s52
	;; [unrolled: 1-line block ×4, first 2 shown]
	v_sub_u32_e32 v2, v2, v8
	v_mul_lo_u32 v8, v2, s55
	v_mul_lo_u32 v9, v2, s48
	;; [unrolled: 1-line block ×3, first 2 shown]
	v_add3_u32 v6, v5, v6, v8
	v_add3_u32 v4, v7, v4, v9
	;; [unrolled: 1-line block ×3, first 2 shown]
	s_cbranch_scc1 .LBB7_7
; %bb.8:
	s_bitcmp1_b32 s31, 0
	s_cselect_b64 s[42:43], -1, 0
	s_and_b64 vcc, exec, s[42:43]
	s_cbranch_vccnz .LBB7_10
; %bb.9:
	s_load_dwordx2 s[42:43], s[2:3], 0x1c
	s_load_dword s24, s[2:3], 0x24
	s_load_dwordx2 s[44:45], s[2:3], 0xdc
	s_waitcnt lgkmcnt(0)
	v_mul_hi_u32 v2, s43, v1
	v_add_u32_e32 v2, v1, v2
	v_lshrrev_b32_e32 v2, s24, v2
	v_mul_lo_u32 v2, v2, s42
	s_load_dword s24, s[2:3], 0xe4
	v_sub_u32_e32 v1, v1, v2
	v_mad_u64_u32 v[6:7], s[2:3], v1, s44, v[6:7]
	v_mad_u64_u32 v[4:5], s[2:3], v1, s45, v[4:5]
	s_waitcnt lgkmcnt(0)
	v_mad_u64_u32 v[0:1], s[2:3], v1, s24, v[0:1]
.LBB7_10:
	s_mov_b64 s[2:3], 0
.LBB7_11:
	s_andn2_b64 vcc, exec, s[2:3]
	s_cbranch_vccnz .LBB7_14
; %bb.12:
	v_mul_hi_u32 v0, s26, v13
	s_andn2_b64 vcc, exec, s[34:35]
	v_add_u32_e32 v0, v13, v0
	v_lshrrev_b32_e32 v1, s27, v0
	v_mul_lo_u32 v0, v1, s25
	v_sub_u32_e32 v0, v13, v0
	v_mul_lo_u32 v6, v0, s36
	v_mul_lo_u32 v4, v0, s37
	;; [unrolled: 1-line block ×3, first 2 shown]
	s_cbranch_vccnz .LBB7_14
; %bb.13:
	v_mul_hi_u32 v2, s29, v1
	v_add_u32_e32 v2, v1, v2
	v_lshrrev_b32_e32 v2, s30, v2
	v_mul_lo_u32 v2, v2, s28
	v_sub_u32_e32 v1, v1, v2
	v_mad_u64_u32 v[6:7], s[2:3], v1, s39, v[6:7]
	v_mad_u64_u32 v[4:5], s[2:3], v1, s6, v[4:5]
	;; [unrolled: 1-line block ×3, first 2 shown]
.LBB7_14:
	global_load_dwordx2 v[7:8], v0, s[12:13]
	v_mov_b32_e32 v0, 0
	v_mov_b32_e32 v1, 0
	s_waitcnt vmcnt(0)
	v_cmp_lt_i64_e32 vcc, s[14:15], v[7:8]
	s_and_saveexec_b64 s[42:43], vcc
	s_cbranch_execz .LBB7_20
; %bb.15:
	v_mov_b32_e32 v0, s15
	v_subrev_co_u32_e32 v2, vcc, s14, v7
	v_subb_co_u32_e32 v3, vcc, v8, v0, vcc
	v_or_b32_e32 v1, s17, v3
	v_mov_b32_e32 v0, 0
	v_cmp_ne_u64_e32 vcc, 0, v[0:1]
                                        ; implicit-def: $vgpr0_vgpr1
	s_and_saveexec_b64 s[2:3], vcc
	s_xor_b64 s[44:45], exec, s[2:3]
	s_cbranch_execz .LBB7_17
; %bb.16:
	s_ashr_i32 s46, s17, 31
	s_add_u32 s2, s16, s46
	s_mov_b32 s47, s46
	s_addc_u32 s3, s17, s46
	s_xor_b64 s[48:49], s[2:3], s[46:47]
	v_cvt_f32_u32_e32 v0, s48
	v_cvt_f32_u32_e32 v1, s49
	s_sub_u32 s24, 0, s48
	s_subb_u32 s47, 0, s49
	v_ashrrev_i32_e32 v5, 31, v3
	v_madmk_f32 v0, v1, 0x4f800000, v0
	v_rcp_f32_e32 v0, v0
	v_mul_f32_e32 v0, 0x5f7ffffc, v0
	v_mul_f32_e32 v1, 0x2f800000, v0
	v_trunc_f32_e32 v1, v1
	v_madmk_f32 v0, v1, 0xcf800000, v0
	v_cvt_u32_f32_e32 v1, v1
	v_cvt_u32_f32_e32 v0, v0
	v_readfirstlane_b32 s52, v1
	v_readfirstlane_b32 s2, v0
	s_mul_i32 s3, s24, s52
	s_mul_hi_u32 s54, s24, s2
	s_mul_i32 s53, s47, s2
	s_add_i32 s3, s54, s3
	s_add_i32 s3, s3, s53
	s_mul_i32 s55, s24, s2
	s_mul_i32 s54, s2, s3
	s_mul_hi_u32 s56, s2, s55
	s_mul_hi_u32 s53, s2, s3
	s_add_u32 s54, s56, s54
	s_addc_u32 s53, 0, s53
	s_mul_hi_u32 s57, s52, s55
	s_mul_i32 s55, s52, s55
	s_add_u32 s54, s54, s55
	s_mul_hi_u32 s56, s52, s3
	s_addc_u32 s53, s53, s57
	s_addc_u32 s54, s56, 0
	s_mul_i32 s3, s52, s3
	s_add_u32 s3, s53, s3
	s_addc_u32 s53, 0, s54
	s_add_u32 s54, s2, s3
	s_cselect_b64 s[2:3], -1, 0
	s_cmp_lg_u64 s[2:3], 0
	s_addc_u32 s52, s52, s53
	s_mul_i32 s2, s24, s52
	s_mul_hi_u32 s3, s24, s54
	s_add_i32 s2, s3, s2
	s_mul_i32 s47, s47, s54
	s_add_i32 s2, s2, s47
	s_mul_i32 s24, s24, s54
	s_mul_hi_u32 s47, s52, s24
	s_mul_i32 s53, s52, s24
	s_mul_i32 s56, s54, s2
	s_mul_hi_u32 s24, s54, s24
	s_mul_hi_u32 s55, s54, s2
	s_add_u32 s24, s24, s56
	s_addc_u32 s55, 0, s55
	s_add_u32 s24, s24, s53
	s_mul_hi_u32 s3, s52, s2
	s_addc_u32 s24, s55, s47
	s_addc_u32 s3, s3, 0
	s_mul_i32 s2, s52, s2
	s_add_u32 s2, s24, s2
	s_addc_u32 s24, 0, s3
	s_add_u32 s47, s54, s2
	s_cselect_b64 s[2:3], -1, 0
	s_cmp_lg_u64 s[2:3], 0
	v_add_co_u32_e32 v0, vcc, v2, v5
	s_addc_u32 s24, s52, s24
	v_xor_b32_e32 v9, v0, v5
	v_addc_co_u32_e32 v2, vcc, v3, v5, vcc
	v_mad_u64_u32 v[0:1], s[2:3], v9, s24, 0
	v_mul_hi_u32 v3, v9, s47
	v_xor_b32_e32 v10, v2, v5
	v_add_co_u32_e32 v11, vcc, v3, v0
	v_addc_co_u32_e32 v12, vcc, 0, v1, vcc
	v_mad_u64_u32 v[0:1], s[2:3], v10, s47, 0
	v_mad_u64_u32 v[2:3], s[2:3], v10, s24, 0
	v_add_co_u32_e32 v0, vcc, v11, v0
	v_addc_co_u32_e32 v0, vcc, v12, v1, vcc
	v_addc_co_u32_e32 v1, vcc, 0, v3, vcc
	v_add_co_u32_e32 v2, vcc, v0, v2
	v_addc_co_u32_e32 v3, vcc, 0, v1, vcc
	v_mul_lo_u32 v11, s49, v2
	v_mul_lo_u32 v12, s48, v3
	v_mad_u64_u32 v[0:1], s[2:3], s48, v2, 0
	v_add3_u32 v1, v1, v12, v11
	v_sub_u32_e32 v11, v10, v1
	v_mov_b32_e32 v12, s49
	v_sub_co_u32_e32 v0, vcc, v9, v0
	v_subb_co_u32_e64 v9, s[2:3], v11, v12, vcc
	v_subrev_co_u32_e64 v11, s[2:3], s48, v0
	v_subbrev_co_u32_e64 v9, s[2:3], 0, v9, s[2:3]
	v_cmp_le_u32_e64 s[2:3], s49, v9
	v_cndmask_b32_e64 v12, 0, -1, s[2:3]
	v_cmp_le_u32_e64 s[2:3], s48, v11
	v_cndmask_b32_e64 v11, 0, -1, s[2:3]
	v_cmp_eq_u32_e64 s[2:3], s49, v9
	v_cndmask_b32_e64 v9, v12, v11, s[2:3]
	v_add_co_u32_e64 v11, s[2:3], 2, v2
	v_subb_co_u32_e32 v1, vcc, v10, v1, vcc
	v_addc_co_u32_e64 v12, s[2:3], 0, v3, s[2:3]
	v_cmp_le_u32_e32 vcc, s49, v1
	v_add_co_u32_e64 v14, s[2:3], 1, v2
	v_cndmask_b32_e64 v10, 0, -1, vcc
	v_cmp_le_u32_e32 vcc, s48, v0
	v_addc_co_u32_e64 v15, s[2:3], 0, v3, s[2:3]
	v_cndmask_b32_e64 v0, 0, -1, vcc
	v_cmp_eq_u32_e32 vcc, s49, v1
	v_cmp_ne_u32_e64 s[2:3], 0, v9
	v_cndmask_b32_e32 v0, v10, v0, vcc
	v_cndmask_b32_e64 v9, v15, v12, s[2:3]
	v_cmp_ne_u32_e32 vcc, 0, v0
	v_cndmask_b32_e64 v1, v14, v11, s[2:3]
	v_cndmask_b32_e32 v0, v3, v9, vcc
	v_cndmask_b32_e32 v1, v2, v1, vcc
	v_xor_b32_e32 v2, s46, v5
	v_xor_b32_e32 v3, v0, v2
	;; [unrolled: 1-line block ×3, first 2 shown]
	v_sub_co_u32_e32 v0, vcc, v0, v2
	v_subb_co_u32_e32 v1, vcc, v3, v2, vcc
                                        ; implicit-def: $vgpr2
.LBB7_17:
	s_andn2_saveexec_b64 s[2:3], s[44:45]
	s_cbranch_execz .LBB7_19
; %bb.18:
	v_cvt_f32_u32_e32 v0, s16
	s_sub_i32 s24, 0, s16
	v_rcp_iflag_f32_e32 v0, v0
	v_mul_f32_e32 v0, 0x4f7ffffe, v0
	v_cvt_u32_f32_e32 v0, v0
	v_mul_lo_u32 v1, s24, v0
	v_mul_hi_u32 v1, v0, v1
	v_add_u32_e32 v0, v0, v1
	v_mul_hi_u32 v0, v2, v0
	v_mul_lo_u32 v1, v0, s16
	v_add_u32_e32 v3, 1, v0
	v_sub_u32_e32 v1, v2, v1
	v_subrev_u32_e32 v2, s16, v1
	v_cmp_le_u32_e32 vcc, s16, v1
	v_cndmask_b32_e32 v1, v1, v2, vcc
	v_cndmask_b32_e32 v0, v0, v3, vcc
	v_add_u32_e32 v2, 1, v0
	v_cmp_le_u32_e32 vcc, s16, v1
	v_cndmask_b32_e32 v0, v0, v2, vcc
	v_mov_b32_e32 v1, 0
.LBB7_19:
	s_or_b64 exec, exec, s[2:3]
.LBB7_20:
	s_or_b64 exec, exec, s[42:43]
	v_or_b32_e32 v3, s17, v8
	v_mov_b32_e32 v2, 0
	v_cmp_ne_u64_e32 vcc, 0, v[2:3]
                                        ; implicit-def: $vgpr2_vgpr3
	s_and_saveexec_b64 s[2:3], vcc
	s_xor_b64 s[42:43], exec, s[2:3]
	s_cbranch_execz .LBB7_22
; %bb.21:
	s_ashr_i32 s44, s17, 31
	s_add_u32 s2, s16, s44
	s_mov_b32 s45, s44
	s_addc_u32 s3, s17, s44
	s_xor_b64 s[46:47], s[2:3], s[44:45]
	v_cvt_f32_u32_e32 v2, s46
	v_cvt_f32_u32_e32 v3, s47
	s_sub_u32 s24, 0, s46
	s_subb_u32 s45, 0, s47
	v_ashrrev_i32_e32 v5, 31, v8
	v_madmk_f32 v2, v3, 0x4f800000, v2
	v_rcp_f32_e32 v2, v2
	v_mul_f32_e32 v2, 0x5f7ffffc, v2
	v_mul_f32_e32 v3, 0x2f800000, v2
	v_trunc_f32_e32 v3, v3
	v_madmk_f32 v2, v3, 0xcf800000, v2
	v_cvt_u32_f32_e32 v3, v3
	v_cvt_u32_f32_e32 v2, v2
	v_readfirstlane_b32 s48, v3
	v_readfirstlane_b32 s2, v2
	s_mul_i32 s3, s24, s48
	s_mul_hi_u32 s52, s24, s2
	s_mul_i32 s49, s45, s2
	s_add_i32 s3, s52, s3
	s_add_i32 s3, s3, s49
	s_mul_i32 s53, s24, s2
	s_mul_i32 s52, s2, s3
	s_mul_hi_u32 s54, s2, s53
	s_mul_hi_u32 s49, s2, s3
	s_add_u32 s52, s54, s52
	s_addc_u32 s49, 0, s49
	s_mul_hi_u32 s55, s48, s53
	s_mul_i32 s53, s48, s53
	s_add_u32 s52, s52, s53
	s_mul_hi_u32 s54, s48, s3
	s_addc_u32 s49, s49, s55
	s_addc_u32 s52, s54, 0
	s_mul_i32 s3, s48, s3
	s_add_u32 s3, s49, s3
	s_addc_u32 s49, 0, s52
	s_add_u32 s52, s2, s3
	s_cselect_b64 s[2:3], -1, 0
	s_cmp_lg_u64 s[2:3], 0
	s_addc_u32 s48, s48, s49
	s_mul_i32 s2, s24, s48
	s_mul_hi_u32 s3, s24, s52
	s_add_i32 s2, s3, s2
	s_mul_i32 s45, s45, s52
	s_add_i32 s2, s2, s45
	s_mul_i32 s24, s24, s52
	s_mul_hi_u32 s45, s48, s24
	s_mul_i32 s49, s48, s24
	s_mul_i32 s54, s52, s2
	s_mul_hi_u32 s24, s52, s24
	s_mul_hi_u32 s53, s52, s2
	s_add_u32 s24, s24, s54
	s_addc_u32 s53, 0, s53
	s_add_u32 s24, s24, s49
	s_mul_hi_u32 s3, s48, s2
	s_addc_u32 s24, s53, s45
	s_addc_u32 s3, s3, 0
	s_mul_i32 s2, s48, s2
	s_add_u32 s2, s24, s2
	s_addc_u32 s24, 0, s3
	s_add_u32 s45, s52, s2
	s_cselect_b64 s[2:3], -1, 0
	s_cmp_lg_u64 s[2:3], 0
	v_add_co_u32_e32 v2, vcc, v7, v5
	s_addc_u32 s24, s48, s24
	v_xor_b32_e32 v11, v2, v5
	v_mad_u64_u32 v[2:3], s[2:3], v11, s24, 0
	v_mul_hi_u32 v10, v11, s45
	v_addc_co_u32_e32 v9, vcc, v8, v5, vcc
	v_xor_b32_e32 v12, v9, v5
	v_add_co_u32_e32 v14, vcc, v10, v2
	v_addc_co_u32_e32 v15, vcc, 0, v3, vcc
	v_mad_u64_u32 v[2:3], s[2:3], v12, s45, 0
	v_mad_u64_u32 v[9:10], s[2:3], v12, s24, 0
	v_add_co_u32_e32 v2, vcc, v14, v2
	v_addc_co_u32_e32 v2, vcc, v15, v3, vcc
	v_addc_co_u32_e32 v3, vcc, 0, v10, vcc
	v_add_co_u32_e32 v9, vcc, v2, v9
	v_addc_co_u32_e32 v10, vcc, 0, v3, vcc
	v_mul_lo_u32 v14, s47, v9
	v_mul_lo_u32 v15, s46, v10
	v_mad_u64_u32 v[2:3], s[2:3], s46, v9, 0
	v_xor_b32_e32 v5, s44, v5
	v_add3_u32 v3, v3, v15, v14
	v_sub_u32_e32 v14, v12, v3
	v_mov_b32_e32 v15, s47
	v_sub_co_u32_e32 v2, vcc, v11, v2
	v_subb_co_u32_e64 v11, s[2:3], v14, v15, vcc
	v_subrev_co_u32_e64 v14, s[2:3], s46, v2
	v_subbrev_co_u32_e64 v11, s[2:3], 0, v11, s[2:3]
	v_cmp_le_u32_e64 s[2:3], s47, v11
	v_cndmask_b32_e64 v15, 0, -1, s[2:3]
	v_cmp_le_u32_e64 s[2:3], s46, v14
	v_cndmask_b32_e64 v14, 0, -1, s[2:3]
	v_cmp_eq_u32_e64 s[2:3], s47, v11
	v_cndmask_b32_e64 v11, v15, v14, s[2:3]
	v_add_co_u32_e64 v14, s[2:3], 2, v9
	v_subb_co_u32_e32 v3, vcc, v12, v3, vcc
	v_addc_co_u32_e64 v15, s[2:3], 0, v10, s[2:3]
	v_cmp_le_u32_e32 vcc, s47, v3
	v_add_co_u32_e64 v16, s[2:3], 1, v9
	v_cndmask_b32_e64 v12, 0, -1, vcc
	v_cmp_le_u32_e32 vcc, s46, v2
	v_addc_co_u32_e64 v17, s[2:3], 0, v10, s[2:3]
	v_cndmask_b32_e64 v2, 0, -1, vcc
	v_cmp_eq_u32_e32 vcc, s47, v3
	v_cmp_ne_u32_e64 s[2:3], 0, v11
	v_cndmask_b32_e32 v2, v12, v2, vcc
	v_cndmask_b32_e64 v11, v17, v15, s[2:3]
	v_cmp_ne_u32_e32 vcc, 0, v2
	v_cndmask_b32_e64 v3, v16, v14, s[2:3]
	v_cndmask_b32_e32 v2, v10, v11, vcc
	v_cndmask_b32_e32 v3, v9, v3, vcc
	v_xor_b32_e32 v9, v2, v5
	v_xor_b32_e32 v2, v3, v5
	v_sub_co_u32_e32 v2, vcc, v2, v5
	v_subb_co_u32_e32 v3, vcc, v9, v5, vcc
.LBB7_22:
	s_andn2_saveexec_b64 s[2:3], s[42:43]
	s_cbranch_execz .LBB7_24
; %bb.23:
	v_cvt_f32_u32_e32 v2, s16
	s_sub_i32 s24, 0, s16
	v_rcp_iflag_f32_e32 v2, v2
	v_mul_f32_e32 v2, 0x4f7ffffe, v2
	v_cvt_u32_f32_e32 v2, v2
	v_mul_lo_u32 v3, s24, v2
	v_mul_hi_u32 v3, v2, v3
	v_add_u32_e32 v2, v2, v3
	v_mul_hi_u32 v2, v7, v2
	v_mul_lo_u32 v3, v2, s16
	v_add_u32_e32 v5, 1, v2
	v_sub_u32_e32 v3, v7, v3
	v_subrev_u32_e32 v9, s16, v3
	v_cmp_le_u32_e32 vcc, s16, v3
	v_cndmask_b32_e32 v3, v3, v9, vcc
	v_cndmask_b32_e32 v2, v2, v5, vcc
	v_add_u32_e32 v5, 1, v2
	v_cmp_le_u32_e32 vcc, s16, v3
	v_cndmask_b32_e32 v2, v2, v5, vcc
	v_mov_b32_e32 v3, 0
.LBB7_24:
	s_or_b64 exec, exec, s[2:3]
	v_mul_lo_u32 v5, v1, s16
	v_mul_lo_u32 v11, v0, s17
	v_mad_u64_u32 v[9:10], s[2:3], v0, s16, 0
	v_add3_u32 v10, v10, v11, v5
	v_cmp_gt_i64_e32 vcc, v[9:10], v[7:8]
	v_mov_b32_e32 v5, s15
	v_add_co_u32_e64 v9, s[2:3], s14, v9
	v_addc_co_u32_e64 v10, s[2:3], v10, v5, s[2:3]
	v_cmp_ge_i64_e64 s[2:3], v[7:8], v[9:10]
	s_or_b64 s[2:3], vcc, s[2:3]
	v_cndmask_b32_e64 v5, 0, 1, s[2:3]
	v_add_co_u32_e32 v11, vcc, v0, v5
	v_addc_co_u32_e32 v12, vcc, 0, v1, vcc
	v_cmp_gt_i64_e32 vcc, s[4:5], v[2:3]
	v_mov_b32_e32 v0, s5
	v_cndmask_b32_e32 v10, v0, v3, vcc
	v_mov_b32_e32 v0, s4
	v_cndmask_b32_e32 v9, v0, v2, vcc
	v_cmp_le_i64_e32 vcc, v[11:12], v[9:10]
	s_and_saveexec_b64 s[42:43], vcc
	s_cbranch_execz .LBB7_27
; %bb.25:
	global_load_dwordx4 v[0:3], v6, s[8:9]
	v_mul_lo_u32 v17, s17, v11
	v_mul_lo_u32 v18, s16, v12
	v_mad_u64_u32 v[14:15], s[2:3], s16, v11, 0
	v_mov_b32_e32 v16, s9
	v_add_co_u32_e32 v5, vcc, s8, v6
	v_addc_co_u32_e32 v6, vcc, 0, v16, vcc
	v_add3_u32 v15, v15, v18, v17
	v_sub_co_u32_e32 v7, vcc, v7, v14
	v_subb_co_u32_e32 v8, vcc, v8, v15, vcc
	v_mul_lo_u32 v18, s23, v7
	v_mul_lo_u32 v19, s22, v8
	v_mad_u64_u32 v[14:15], s[2:3], s22, v7, 0
	v_mul_lo_u32 v20, s21, v11
	v_mul_lo_u32 v21, s20, v12
	v_mad_u64_u32 v[16:17], s[2:3], s20, v11, 0
	v_add_co_u32_e32 v7, vcc, -1, v11
	v_add3_u32 v15, v15, v19, v18
	v_add3_u32 v17, v17, v21, v20
	v_addc_co_u32_e32 v8, vcc, -1, v12, vcc
	v_lshlrev_b64 v[11:12], 4, v[14:15]
	v_lshlrev_b64 v[14:15], 4, v[16:17]
	s_mul_i32 s24, s16, s23
	v_add_co_u32_e32 v11, vcc, v11, v14
	v_addc_co_u32_e32 v12, vcc, v12, v15, vcc
	v_add_co_u32_e32 v4, vcc, v11, v4
	s_mul_hi_u32 s44, s16, s22
	v_addc_co_u32_e32 v11, vcc, 0, v12, vcc
	s_add_i32 s24, s44, s24
	s_mul_i32 s44, s17, s22
	v_mov_b32_e32 v12, s11
	v_add_co_u32_e32 v4, vcc, s10, v4
	s_add_i32 s45, s24, s44
	s_mul_i32 s44, s16, s22
	v_addc_co_u32_e32 v12, vcc, v12, v11, vcc
	s_lshl_b64 s[2:3], s[20:21], 4
	s_lshl_b64 s[44:45], s[44:45], 4
	v_add_co_u32_e32 v11, vcc, 8, v4
	s_sub_u32 s24, s2, s44
	v_addc_co_u32_e32 v12, vcc, 0, v12, vcc
	s_subb_u32 s46, s3, s45
	s_mov_b64 s[44:45], 0
.LBB7_26:                               ; =>This Inner Loop Header: Depth=1
	global_load_dwordx4 v[14:17], v[11:12], off offset:-8
	v_add_co_u32_e32 v7, vcc, 1, v7
	v_addc_co_u32_e32 v8, vcc, 0, v8, vcc
	v_cmp_ge_i64_e64 s[2:3], v[7:8], v[9:10]
	v_mov_b32_e32 v4, s46
	v_add_co_u32_e32 v11, vcc, s24, v11
	v_addc_co_u32_e32 v12, vcc, v12, v4, vcc
	s_or_b64 s[44:45], s[2:3], s[44:45]
	s_waitcnt vmcnt(0)
	v_add_f64 v[0:1], v[0:1], v[14:15]
	v_add_f64 v[2:3], v[2:3], v[16:17]
	global_store_dwordx4 v[5:6], v[0:3], off
	s_andn2_b64 exec, exec, s[44:45]
	s_cbranch_execnz .LBB7_26
.LBB7_27:
	s_or_b64 exec, exec, s[42:43]
	v_add_u32_e32 v13, 0x100, v13
	s_or_b64 exec, exec, s[18:19]
	v_cmp_gt_i32_e32 vcc, s51, v13
	s_and_saveexec_b64 s[18:19], vcc
	s_cbranch_execz .LBB7_2
.LBB7_28:
	s_and_b64 vcc, exec, s[0:1]
	s_cbranch_vccnz .LBB7_35
; %bb.29:
	v_mov_b32_e32 v6, 0
	s_andn2_b64 vcc, exec, s[40:41]
	v_mov_b32_e32 v4, 0
	v_mov_b32_e32 v0, 0
	s_cbranch_vccnz .LBB7_34
; %bb.30:
	s_add_i32 s2, s31, 1
	s_and_b32 s24, s2, 30
	s_add_u32 s2, s33, 0xffffffe8
	s_addc_u32 s3, s50, -1
	v_mov_b32_e32 v0, 0
	v_mov_b32_e32 v4, 0
	;; [unrolled: 1-line block ×4, first 2 shown]
.LBB7_31:                               ; =>This Inner Loop Header: Depth=1
	s_load_dwordx4 s[44:47], s[2:3], 0x1c
	s_load_dwordx2 s[42:43], s[2:3], 0x2c
	s_load_dwordx2 s[48:49], s[2:3], 0xec
	s_load_dwordx4 s[52:55], s[2:3], 0xdc
	s_add_u32 s2, s2, 24
	s_waitcnt lgkmcnt(0)
	v_mul_hi_u32 v2, s45, v1
	s_addc_u32 s3, s3, 0
	s_add_i32 s24, s24, -2
	s_cmp_eq_u32 s24, 0
	v_add_u32_e32 v2, v1, v2
	v_lshrrev_b32_e32 v2, s46, v2
	v_mul_lo_u32 v3, v2, s44
	v_mul_hi_u32 v5, s42, v2
	v_sub_u32_e32 v3, v1, v3
	v_add_u32_e32 v1, v2, v5
	v_lshrrev_b32_e32 v1, s43, v1
	v_mul_lo_u32 v8, v1, s47
	v_mul_lo_u32 v5, v3, s52
	;; [unrolled: 1-line block ×4, first 2 shown]
	v_sub_u32_e32 v2, v2, v8
	v_mul_lo_u32 v8, v2, s55
	v_mul_lo_u32 v9, v2, s48
	;; [unrolled: 1-line block ×3, first 2 shown]
	v_add3_u32 v6, v5, v6, v8
	v_add3_u32 v4, v7, v4, v9
	;; [unrolled: 1-line block ×3, first 2 shown]
	s_cbranch_scc0 .LBB7_31
; %bb.32:
	s_bitcmp1_b32 s31, 0
	s_cselect_b64 s[42:43], -1, 0
	s_and_b64 vcc, exec, s[42:43]
	s_cbranch_vccnz .LBB7_34
; %bb.33:
	s_load_dwordx2 s[42:43], s[2:3], 0x1c
	s_load_dword s24, s[2:3], 0x24
	s_load_dwordx2 s[44:45], s[2:3], 0xdc
	s_waitcnt lgkmcnt(0)
	v_mul_hi_u32 v2, s43, v1
	v_add_u32_e32 v2, v1, v2
	v_lshrrev_b32_e32 v2, s24, v2
	v_mul_lo_u32 v2, v2, s42
	s_load_dword s24, s[2:3], 0xe4
	v_sub_u32_e32 v1, v1, v2
	v_mad_u64_u32 v[6:7], s[2:3], v1, s44, v[6:7]
	v_mad_u64_u32 v[4:5], s[2:3], v1, s45, v[4:5]
	s_waitcnt lgkmcnt(0)
	v_mad_u64_u32 v[0:1], s[2:3], v1, s24, v[0:1]
.LBB7_34:
	s_cbranch_execz .LBB7_36
	s_branch .LBB7_38
.LBB7_35:
                                        ; implicit-def: $vgpr6
                                        ; implicit-def: $vgpr4
                                        ; implicit-def: $vgpr0
.LBB7_36:
	v_mul_hi_u32 v0, s26, v13
	s_andn2_b64 vcc, exec, s[34:35]
	v_add_u32_e32 v0, v13, v0
	v_lshrrev_b32_e32 v1, s27, v0
	v_mul_lo_u32 v0, v1, s25
	v_sub_u32_e32 v0, v13, v0
	v_mul_lo_u32 v6, v0, s36
	v_mul_lo_u32 v4, v0, s37
	;; [unrolled: 1-line block ×3, first 2 shown]
	s_cbranch_vccnz .LBB7_38
; %bb.37:
	v_mul_hi_u32 v2, s29, v1
	v_add_u32_e32 v2, v1, v2
	v_lshrrev_b32_e32 v2, s30, v2
	v_mul_lo_u32 v2, v2, s28
	v_sub_u32_e32 v1, v1, v2
	v_mad_u64_u32 v[6:7], s[2:3], v1, s39, v[6:7]
	v_mad_u64_u32 v[4:5], s[2:3], v1, s6, v[4:5]
	;; [unrolled: 1-line block ×3, first 2 shown]
.LBB7_38:
	global_load_dwordx2 v[7:8], v0, s[12:13]
	v_mov_b32_e32 v0, 0
	v_mov_b32_e32 v1, 0
	s_waitcnt vmcnt(0)
	v_cmp_lt_i64_e32 vcc, s[14:15], v[7:8]
	s_and_saveexec_b64 s[42:43], vcc
	s_cbranch_execz .LBB7_44
; %bb.39:
	v_mov_b32_e32 v0, s15
	v_subrev_co_u32_e32 v2, vcc, s14, v7
	v_subb_co_u32_e32 v3, vcc, v8, v0, vcc
	v_or_b32_e32 v1, s17, v3
	v_mov_b32_e32 v0, 0
	v_cmp_ne_u64_e32 vcc, 0, v[0:1]
                                        ; implicit-def: $vgpr0_vgpr1
	s_and_saveexec_b64 s[2:3], vcc
	s_xor_b64 s[44:45], exec, s[2:3]
	s_cbranch_execz .LBB7_41
; %bb.40:
	s_ashr_i32 s46, s17, 31
	s_add_u32 s2, s16, s46
	s_mov_b32 s47, s46
	s_addc_u32 s3, s17, s46
	s_xor_b64 s[48:49], s[2:3], s[46:47]
	v_cvt_f32_u32_e32 v0, s48
	v_cvt_f32_u32_e32 v1, s49
	s_sub_u32 s24, 0, s48
	s_subb_u32 s47, 0, s49
	v_ashrrev_i32_e32 v5, 31, v3
	v_madmk_f32 v0, v1, 0x4f800000, v0
	v_rcp_f32_e32 v0, v0
	v_mul_f32_e32 v0, 0x5f7ffffc, v0
	v_mul_f32_e32 v1, 0x2f800000, v0
	v_trunc_f32_e32 v1, v1
	v_madmk_f32 v0, v1, 0xcf800000, v0
	v_cvt_u32_f32_e32 v1, v1
	v_cvt_u32_f32_e32 v0, v0
	v_readfirstlane_b32 s52, v1
	v_readfirstlane_b32 s2, v0
	s_mul_i32 s3, s24, s52
	s_mul_hi_u32 s54, s24, s2
	s_mul_i32 s53, s47, s2
	s_add_i32 s3, s54, s3
	s_add_i32 s3, s3, s53
	s_mul_i32 s55, s24, s2
	s_mul_i32 s54, s2, s3
	s_mul_hi_u32 s56, s2, s55
	s_mul_hi_u32 s53, s2, s3
	s_add_u32 s54, s56, s54
	s_addc_u32 s53, 0, s53
	s_mul_hi_u32 s57, s52, s55
	s_mul_i32 s55, s52, s55
	s_add_u32 s54, s54, s55
	s_mul_hi_u32 s56, s52, s3
	s_addc_u32 s53, s53, s57
	s_addc_u32 s54, s56, 0
	s_mul_i32 s3, s52, s3
	s_add_u32 s3, s53, s3
	s_addc_u32 s53, 0, s54
	s_add_u32 s54, s2, s3
	s_cselect_b64 s[2:3], -1, 0
	s_cmp_lg_u64 s[2:3], 0
	s_addc_u32 s52, s52, s53
	s_mul_i32 s2, s24, s52
	s_mul_hi_u32 s3, s24, s54
	s_add_i32 s2, s3, s2
	s_mul_i32 s47, s47, s54
	s_add_i32 s2, s2, s47
	s_mul_i32 s24, s24, s54
	s_mul_hi_u32 s47, s52, s24
	s_mul_i32 s53, s52, s24
	s_mul_i32 s56, s54, s2
	s_mul_hi_u32 s24, s54, s24
	s_mul_hi_u32 s55, s54, s2
	s_add_u32 s24, s24, s56
	s_addc_u32 s55, 0, s55
	s_add_u32 s24, s24, s53
	s_mul_hi_u32 s3, s52, s2
	s_addc_u32 s24, s55, s47
	s_addc_u32 s3, s3, 0
	s_mul_i32 s2, s52, s2
	s_add_u32 s2, s24, s2
	s_addc_u32 s24, 0, s3
	s_add_u32 s47, s54, s2
	s_cselect_b64 s[2:3], -1, 0
	s_cmp_lg_u64 s[2:3], 0
	v_add_co_u32_e32 v0, vcc, v2, v5
	s_addc_u32 s24, s52, s24
	v_xor_b32_e32 v9, v0, v5
	v_addc_co_u32_e32 v2, vcc, v3, v5, vcc
	v_mad_u64_u32 v[0:1], s[2:3], v9, s24, 0
	v_mul_hi_u32 v3, v9, s47
	v_xor_b32_e32 v10, v2, v5
	v_add_co_u32_e32 v11, vcc, v3, v0
	v_addc_co_u32_e32 v12, vcc, 0, v1, vcc
	v_mad_u64_u32 v[0:1], s[2:3], v10, s47, 0
	v_mad_u64_u32 v[2:3], s[2:3], v10, s24, 0
	v_add_co_u32_e32 v0, vcc, v11, v0
	v_addc_co_u32_e32 v0, vcc, v12, v1, vcc
	v_addc_co_u32_e32 v1, vcc, 0, v3, vcc
	v_add_co_u32_e32 v2, vcc, v0, v2
	v_addc_co_u32_e32 v3, vcc, 0, v1, vcc
	v_mul_lo_u32 v11, s49, v2
	v_mul_lo_u32 v12, s48, v3
	v_mad_u64_u32 v[0:1], s[2:3], s48, v2, 0
	v_add3_u32 v1, v1, v12, v11
	v_sub_u32_e32 v11, v10, v1
	v_mov_b32_e32 v12, s49
	v_sub_co_u32_e32 v0, vcc, v9, v0
	v_subb_co_u32_e64 v9, s[2:3], v11, v12, vcc
	v_subrev_co_u32_e64 v11, s[2:3], s48, v0
	v_subbrev_co_u32_e64 v9, s[2:3], 0, v9, s[2:3]
	v_cmp_le_u32_e64 s[2:3], s49, v9
	v_cndmask_b32_e64 v12, 0, -1, s[2:3]
	v_cmp_le_u32_e64 s[2:3], s48, v11
	v_cndmask_b32_e64 v11, 0, -1, s[2:3]
	v_cmp_eq_u32_e64 s[2:3], s49, v9
	v_cndmask_b32_e64 v9, v12, v11, s[2:3]
	v_add_co_u32_e64 v11, s[2:3], 2, v2
	v_subb_co_u32_e32 v1, vcc, v10, v1, vcc
	v_addc_co_u32_e64 v12, s[2:3], 0, v3, s[2:3]
	v_cmp_le_u32_e32 vcc, s49, v1
	v_add_co_u32_e64 v14, s[2:3], 1, v2
	v_cndmask_b32_e64 v10, 0, -1, vcc
	v_cmp_le_u32_e32 vcc, s48, v0
	v_addc_co_u32_e64 v15, s[2:3], 0, v3, s[2:3]
	v_cndmask_b32_e64 v0, 0, -1, vcc
	v_cmp_eq_u32_e32 vcc, s49, v1
	v_cmp_ne_u32_e64 s[2:3], 0, v9
	v_cndmask_b32_e32 v0, v10, v0, vcc
	v_cndmask_b32_e64 v9, v15, v12, s[2:3]
	v_cmp_ne_u32_e32 vcc, 0, v0
	v_cndmask_b32_e64 v1, v14, v11, s[2:3]
	v_cndmask_b32_e32 v0, v3, v9, vcc
	v_cndmask_b32_e32 v1, v2, v1, vcc
	v_xor_b32_e32 v2, s46, v5
	v_xor_b32_e32 v3, v0, v2
	;; [unrolled: 1-line block ×3, first 2 shown]
	v_sub_co_u32_e32 v0, vcc, v0, v2
	v_subb_co_u32_e32 v1, vcc, v3, v2, vcc
                                        ; implicit-def: $vgpr2
.LBB7_41:
	s_andn2_saveexec_b64 s[2:3], s[44:45]
	s_cbranch_execz .LBB7_43
; %bb.42:
	v_cvt_f32_u32_e32 v0, s16
	s_sub_i32 s24, 0, s16
	v_rcp_iflag_f32_e32 v0, v0
	v_mul_f32_e32 v0, 0x4f7ffffe, v0
	v_cvt_u32_f32_e32 v0, v0
	v_mul_lo_u32 v1, s24, v0
	v_mul_hi_u32 v1, v0, v1
	v_add_u32_e32 v0, v0, v1
	v_mul_hi_u32 v0, v2, v0
	v_mul_lo_u32 v1, v0, s16
	v_add_u32_e32 v3, 1, v0
	v_sub_u32_e32 v1, v2, v1
	v_subrev_u32_e32 v2, s16, v1
	v_cmp_le_u32_e32 vcc, s16, v1
	v_cndmask_b32_e32 v1, v1, v2, vcc
	v_cndmask_b32_e32 v0, v0, v3, vcc
	v_add_u32_e32 v2, 1, v0
	v_cmp_le_u32_e32 vcc, s16, v1
	v_cndmask_b32_e32 v0, v0, v2, vcc
	v_mov_b32_e32 v1, 0
.LBB7_43:
	s_or_b64 exec, exec, s[2:3]
.LBB7_44:
	s_or_b64 exec, exec, s[42:43]
	v_or_b32_e32 v3, s17, v8
	v_mov_b32_e32 v2, 0
	v_cmp_ne_u64_e32 vcc, 0, v[2:3]
                                        ; implicit-def: $vgpr2_vgpr3
	s_and_saveexec_b64 s[2:3], vcc
	s_xor_b64 s[42:43], exec, s[2:3]
	s_cbranch_execz .LBB7_46
; %bb.45:
	s_ashr_i32 s44, s17, 31
	s_add_u32 s2, s16, s44
	s_mov_b32 s45, s44
	s_addc_u32 s3, s17, s44
	s_xor_b64 s[46:47], s[2:3], s[44:45]
	v_cvt_f32_u32_e32 v2, s46
	v_cvt_f32_u32_e32 v3, s47
	s_sub_u32 s24, 0, s46
	s_subb_u32 s45, 0, s47
	v_ashrrev_i32_e32 v5, 31, v8
	v_madmk_f32 v2, v3, 0x4f800000, v2
	v_rcp_f32_e32 v2, v2
	v_mul_f32_e32 v2, 0x5f7ffffc, v2
	v_mul_f32_e32 v3, 0x2f800000, v2
	v_trunc_f32_e32 v3, v3
	v_madmk_f32 v2, v3, 0xcf800000, v2
	v_cvt_u32_f32_e32 v3, v3
	v_cvt_u32_f32_e32 v2, v2
	v_readfirstlane_b32 s48, v3
	v_readfirstlane_b32 s2, v2
	s_mul_i32 s3, s24, s48
	s_mul_hi_u32 s52, s24, s2
	s_mul_i32 s49, s45, s2
	s_add_i32 s3, s52, s3
	s_add_i32 s3, s3, s49
	s_mul_i32 s53, s24, s2
	s_mul_i32 s52, s2, s3
	s_mul_hi_u32 s54, s2, s53
	s_mul_hi_u32 s49, s2, s3
	s_add_u32 s52, s54, s52
	s_addc_u32 s49, 0, s49
	s_mul_hi_u32 s55, s48, s53
	s_mul_i32 s53, s48, s53
	s_add_u32 s52, s52, s53
	s_mul_hi_u32 s54, s48, s3
	s_addc_u32 s49, s49, s55
	s_addc_u32 s52, s54, 0
	s_mul_i32 s3, s48, s3
	s_add_u32 s3, s49, s3
	s_addc_u32 s49, 0, s52
	s_add_u32 s52, s2, s3
	s_cselect_b64 s[2:3], -1, 0
	s_cmp_lg_u64 s[2:3], 0
	s_addc_u32 s48, s48, s49
	s_mul_i32 s2, s24, s48
	s_mul_hi_u32 s3, s24, s52
	s_add_i32 s2, s3, s2
	s_mul_i32 s45, s45, s52
	s_add_i32 s2, s2, s45
	s_mul_i32 s24, s24, s52
	s_mul_hi_u32 s45, s48, s24
	s_mul_i32 s49, s48, s24
	s_mul_i32 s54, s52, s2
	s_mul_hi_u32 s24, s52, s24
	s_mul_hi_u32 s53, s52, s2
	s_add_u32 s24, s24, s54
	s_addc_u32 s53, 0, s53
	s_add_u32 s24, s24, s49
	s_mul_hi_u32 s3, s48, s2
	s_addc_u32 s24, s53, s45
	s_addc_u32 s3, s3, 0
	s_mul_i32 s2, s48, s2
	s_add_u32 s2, s24, s2
	s_addc_u32 s24, 0, s3
	s_add_u32 s45, s52, s2
	s_cselect_b64 s[2:3], -1, 0
	s_cmp_lg_u64 s[2:3], 0
	v_add_co_u32_e32 v2, vcc, v7, v5
	s_addc_u32 s24, s48, s24
	v_xor_b32_e32 v11, v2, v5
	v_mad_u64_u32 v[2:3], s[2:3], v11, s24, 0
	v_mul_hi_u32 v10, v11, s45
	v_addc_co_u32_e32 v9, vcc, v8, v5, vcc
	v_xor_b32_e32 v12, v9, v5
	v_add_co_u32_e32 v14, vcc, v10, v2
	v_addc_co_u32_e32 v15, vcc, 0, v3, vcc
	v_mad_u64_u32 v[2:3], s[2:3], v12, s45, 0
	v_mad_u64_u32 v[9:10], s[2:3], v12, s24, 0
	v_add_co_u32_e32 v2, vcc, v14, v2
	v_addc_co_u32_e32 v2, vcc, v15, v3, vcc
	v_addc_co_u32_e32 v3, vcc, 0, v10, vcc
	v_add_co_u32_e32 v9, vcc, v2, v9
	v_addc_co_u32_e32 v10, vcc, 0, v3, vcc
	v_mul_lo_u32 v14, s47, v9
	v_mul_lo_u32 v15, s46, v10
	v_mad_u64_u32 v[2:3], s[2:3], s46, v9, 0
	v_xor_b32_e32 v5, s44, v5
	v_add3_u32 v3, v3, v15, v14
	v_sub_u32_e32 v14, v12, v3
	v_mov_b32_e32 v15, s47
	v_sub_co_u32_e32 v2, vcc, v11, v2
	v_subb_co_u32_e64 v11, s[2:3], v14, v15, vcc
	v_subrev_co_u32_e64 v14, s[2:3], s46, v2
	v_subbrev_co_u32_e64 v11, s[2:3], 0, v11, s[2:3]
	v_cmp_le_u32_e64 s[2:3], s47, v11
	v_cndmask_b32_e64 v15, 0, -1, s[2:3]
	v_cmp_le_u32_e64 s[2:3], s46, v14
	v_cndmask_b32_e64 v14, 0, -1, s[2:3]
	v_cmp_eq_u32_e64 s[2:3], s47, v11
	v_cndmask_b32_e64 v11, v15, v14, s[2:3]
	v_add_co_u32_e64 v14, s[2:3], 2, v9
	v_subb_co_u32_e32 v3, vcc, v12, v3, vcc
	v_addc_co_u32_e64 v15, s[2:3], 0, v10, s[2:3]
	v_cmp_le_u32_e32 vcc, s47, v3
	v_add_co_u32_e64 v16, s[2:3], 1, v9
	v_cndmask_b32_e64 v12, 0, -1, vcc
	v_cmp_le_u32_e32 vcc, s46, v2
	v_addc_co_u32_e64 v17, s[2:3], 0, v10, s[2:3]
	v_cndmask_b32_e64 v2, 0, -1, vcc
	v_cmp_eq_u32_e32 vcc, s47, v3
	v_cmp_ne_u32_e64 s[2:3], 0, v11
	v_cndmask_b32_e32 v2, v12, v2, vcc
	v_cndmask_b32_e64 v11, v17, v15, s[2:3]
	v_cmp_ne_u32_e32 vcc, 0, v2
	v_cndmask_b32_e64 v3, v16, v14, s[2:3]
	v_cndmask_b32_e32 v2, v10, v11, vcc
	v_cndmask_b32_e32 v3, v9, v3, vcc
	v_xor_b32_e32 v9, v2, v5
	v_xor_b32_e32 v2, v3, v5
	v_sub_co_u32_e32 v2, vcc, v2, v5
	v_subb_co_u32_e32 v3, vcc, v9, v5, vcc
.LBB7_46:
	s_andn2_saveexec_b64 s[2:3], s[42:43]
	s_cbranch_execz .LBB7_48
; %bb.47:
	v_cvt_f32_u32_e32 v2, s16
	s_sub_i32 s24, 0, s16
	v_rcp_iflag_f32_e32 v2, v2
	v_mul_f32_e32 v2, 0x4f7ffffe, v2
	v_cvt_u32_f32_e32 v2, v2
	v_mul_lo_u32 v3, s24, v2
	v_mul_hi_u32 v3, v2, v3
	v_add_u32_e32 v2, v2, v3
	v_mul_hi_u32 v2, v7, v2
	v_mul_lo_u32 v3, v2, s16
	v_add_u32_e32 v5, 1, v2
	v_sub_u32_e32 v3, v7, v3
	v_subrev_u32_e32 v9, s16, v3
	v_cmp_le_u32_e32 vcc, s16, v3
	v_cndmask_b32_e32 v3, v3, v9, vcc
	v_cndmask_b32_e32 v2, v2, v5, vcc
	v_add_u32_e32 v5, 1, v2
	v_cmp_le_u32_e32 vcc, s16, v3
	v_cndmask_b32_e32 v2, v2, v5, vcc
	v_mov_b32_e32 v3, 0
.LBB7_48:
	s_or_b64 exec, exec, s[2:3]
	v_mul_lo_u32 v5, v1, s16
	v_mul_lo_u32 v11, v0, s17
	v_mad_u64_u32 v[9:10], s[2:3], v0, s16, 0
	v_add3_u32 v10, v10, v11, v5
	v_cmp_gt_i64_e32 vcc, v[9:10], v[7:8]
	v_mov_b32_e32 v5, s15
	v_add_co_u32_e64 v9, s[2:3], s14, v9
	v_addc_co_u32_e64 v10, s[2:3], v10, v5, s[2:3]
	v_cmp_ge_i64_e64 s[2:3], v[7:8], v[9:10]
	s_or_b64 s[2:3], vcc, s[2:3]
	v_cndmask_b32_e64 v5, 0, 1, s[2:3]
	v_add_co_u32_e32 v11, vcc, v0, v5
	v_addc_co_u32_e32 v12, vcc, 0, v1, vcc
	v_cmp_gt_i64_e32 vcc, s[4:5], v[2:3]
	v_mov_b32_e32 v0, s5
	v_cndmask_b32_e32 v10, v0, v3, vcc
	v_mov_b32_e32 v0, s4
	v_cndmask_b32_e32 v9, v0, v2, vcc
	v_cmp_le_i64_e32 vcc, v[11:12], v[9:10]
	s_and_saveexec_b64 s[42:43], vcc
	s_cbranch_execz .LBB7_51
; %bb.49:
	global_load_dwordx4 v[0:3], v6, s[8:9]
	v_mul_lo_u32 v17, s17, v11
	v_mul_lo_u32 v18, s16, v12
	v_mad_u64_u32 v[14:15], s[2:3], s16, v11, 0
	v_mov_b32_e32 v16, s9
	v_add_co_u32_e32 v5, vcc, s8, v6
	v_addc_co_u32_e32 v6, vcc, 0, v16, vcc
	v_add3_u32 v15, v15, v18, v17
	v_sub_co_u32_e32 v7, vcc, v7, v14
	v_subb_co_u32_e32 v8, vcc, v8, v15, vcc
	v_mul_lo_u32 v18, s23, v7
	v_mul_lo_u32 v19, s22, v8
	v_mad_u64_u32 v[14:15], s[2:3], s22, v7, 0
	v_mul_lo_u32 v20, s21, v11
	v_mul_lo_u32 v21, s20, v12
	v_mad_u64_u32 v[16:17], s[2:3], s20, v11, 0
	v_add_co_u32_e32 v7, vcc, -1, v11
	v_add3_u32 v15, v15, v19, v18
	v_add3_u32 v17, v17, v21, v20
	v_addc_co_u32_e32 v8, vcc, -1, v12, vcc
	v_lshlrev_b64 v[11:12], 4, v[14:15]
	v_lshlrev_b64 v[14:15], 4, v[16:17]
	s_mul_i32 s24, s16, s23
	v_add_co_u32_e32 v11, vcc, v11, v14
	v_addc_co_u32_e32 v12, vcc, v12, v15, vcc
	v_add_co_u32_e32 v4, vcc, v11, v4
	s_mul_hi_u32 s44, s16, s22
	v_addc_co_u32_e32 v11, vcc, 0, v12, vcc
	s_add_i32 s24, s44, s24
	s_mul_i32 s44, s17, s22
	v_mov_b32_e32 v12, s11
	v_add_co_u32_e32 v4, vcc, s10, v4
	s_add_i32 s45, s24, s44
	s_mul_i32 s44, s16, s22
	v_addc_co_u32_e32 v12, vcc, v12, v11, vcc
	s_lshl_b64 s[2:3], s[20:21], 4
	s_lshl_b64 s[44:45], s[44:45], 4
	v_add_co_u32_e32 v11, vcc, 8, v4
	s_sub_u32 s24, s2, s44
	v_addc_co_u32_e32 v12, vcc, 0, v12, vcc
	s_subb_u32 s46, s3, s45
	s_mov_b64 s[44:45], 0
.LBB7_50:                               ; =>This Inner Loop Header: Depth=1
	global_load_dwordx4 v[14:17], v[11:12], off offset:-8
	v_add_co_u32_e32 v7, vcc, 1, v7
	v_addc_co_u32_e32 v8, vcc, 0, v8, vcc
	v_cmp_ge_i64_e64 s[2:3], v[7:8], v[9:10]
	v_mov_b32_e32 v4, s46
	v_add_co_u32_e32 v11, vcc, s24, v11
	v_addc_co_u32_e32 v12, vcc, v12, v4, vcc
	s_or_b64 s[44:45], s[2:3], s[44:45]
	s_waitcnt vmcnt(0)
	v_add_f64 v[0:1], v[0:1], v[14:15]
	v_add_f64 v[2:3], v[2:3], v[16:17]
	global_store_dwordx4 v[5:6], v[0:3], off
	s_andn2_b64 exec, exec, s[44:45]
	s_cbranch_execnz .LBB7_50
.LBB7_51:
	s_or_b64 exec, exec, s[42:43]
	v_add_u32_e32 v13, 0x100, v13
	s_or_b64 exec, exec, s[18:19]
	v_cmp_gt_i32_e32 vcc, s51, v13
	s_and_saveexec_b64 s[18:19], vcc
	s_cbranch_execz .LBB7_3
.LBB7_52:
	s_and_b64 vcc, exec, s[0:1]
	s_cbranch_vccnz .LBB7_59
; %bb.53:
	v_mov_b32_e32 v6, 0
	s_andn2_b64 vcc, exec, s[40:41]
	v_mov_b32_e32 v4, 0
	v_mov_b32_e32 v0, 0
	s_cbranch_vccnz .LBB7_58
; %bb.54:
	s_add_i32 s2, s31, 1
	s_and_b32 s24, s2, 30
	s_add_u32 s2, s33, 0xffffffe8
	s_addc_u32 s3, s50, -1
	v_mov_b32_e32 v0, 0
	v_mov_b32_e32 v4, 0
	;; [unrolled: 1-line block ×4, first 2 shown]
.LBB7_55:                               ; =>This Inner Loop Header: Depth=1
	s_load_dwordx4 s[44:47], s[2:3], 0x1c
	s_load_dwordx2 s[42:43], s[2:3], 0x2c
	s_load_dwordx2 s[48:49], s[2:3], 0xec
	s_load_dwordx4 s[52:55], s[2:3], 0xdc
	s_add_u32 s2, s2, 24
	s_waitcnt lgkmcnt(0)
	v_mul_hi_u32 v2, s45, v1
	s_addc_u32 s3, s3, 0
	s_add_i32 s24, s24, -2
	s_cmp_eq_u32 s24, 0
	v_add_u32_e32 v2, v1, v2
	v_lshrrev_b32_e32 v2, s46, v2
	v_mul_lo_u32 v3, v2, s44
	v_mul_hi_u32 v5, s42, v2
	v_sub_u32_e32 v3, v1, v3
	v_add_u32_e32 v1, v2, v5
	v_lshrrev_b32_e32 v1, s43, v1
	v_mul_lo_u32 v8, v1, s47
	v_mul_lo_u32 v5, v3, s52
	;; [unrolled: 1-line block ×4, first 2 shown]
	v_sub_u32_e32 v2, v2, v8
	v_mul_lo_u32 v8, v2, s55
	v_mul_lo_u32 v9, v2, s48
	;; [unrolled: 1-line block ×3, first 2 shown]
	v_add3_u32 v6, v5, v6, v8
	v_add3_u32 v4, v7, v4, v9
	;; [unrolled: 1-line block ×3, first 2 shown]
	s_cbranch_scc0 .LBB7_55
; %bb.56:
	s_bitcmp1_b32 s31, 0
	s_cselect_b64 s[42:43], -1, 0
	s_and_b64 vcc, exec, s[42:43]
	s_cbranch_vccnz .LBB7_58
; %bb.57:
	s_load_dwordx2 s[42:43], s[2:3], 0x1c
	s_load_dword s24, s[2:3], 0x24
	s_load_dwordx2 s[44:45], s[2:3], 0xdc
	s_waitcnt lgkmcnt(0)
	v_mul_hi_u32 v2, s43, v1
	v_add_u32_e32 v2, v1, v2
	v_lshrrev_b32_e32 v2, s24, v2
	v_mul_lo_u32 v2, v2, s42
	s_load_dword s24, s[2:3], 0xe4
	v_sub_u32_e32 v1, v1, v2
	v_mad_u64_u32 v[6:7], s[2:3], v1, s44, v[6:7]
	v_mad_u64_u32 v[4:5], s[2:3], v1, s45, v[4:5]
	s_waitcnt lgkmcnt(0)
	v_mad_u64_u32 v[0:1], s[2:3], v1, s24, v[0:1]
.LBB7_58:
	s_cbranch_execz .LBB7_60
	s_branch .LBB7_62
.LBB7_59:
                                        ; implicit-def: $vgpr6
                                        ; implicit-def: $vgpr4
                                        ; implicit-def: $vgpr0
.LBB7_60:
	v_mul_hi_u32 v0, s26, v13
	s_andn2_b64 vcc, exec, s[34:35]
	v_add_u32_e32 v0, v13, v0
	v_lshrrev_b32_e32 v1, s27, v0
	v_mul_lo_u32 v0, v1, s25
	v_sub_u32_e32 v0, v13, v0
	v_mul_lo_u32 v6, v0, s36
	v_mul_lo_u32 v4, v0, s37
	v_mul_lo_u32 v0, v0, s38
	s_cbranch_vccnz .LBB7_62
; %bb.61:
	v_mul_hi_u32 v2, s29, v1
	v_add_u32_e32 v2, v1, v2
	v_lshrrev_b32_e32 v2, s30, v2
	v_mul_lo_u32 v2, v2, s28
	v_sub_u32_e32 v1, v1, v2
	v_mad_u64_u32 v[6:7], s[2:3], v1, s39, v[6:7]
	v_mad_u64_u32 v[4:5], s[2:3], v1, s6, v[4:5]
	v_mad_u64_u32 v[0:1], s[2:3], v1, s7, v[0:1]
.LBB7_62:
	global_load_dwordx2 v[7:8], v0, s[12:13]
	v_mov_b32_e32 v0, 0
	v_mov_b32_e32 v1, 0
	s_waitcnt vmcnt(0)
	v_cmp_lt_i64_e32 vcc, s[14:15], v[7:8]
	s_and_saveexec_b64 s[42:43], vcc
	s_cbranch_execz .LBB7_68
; %bb.63:
	v_mov_b32_e32 v0, s15
	v_subrev_co_u32_e32 v2, vcc, s14, v7
	v_subb_co_u32_e32 v3, vcc, v8, v0, vcc
	v_or_b32_e32 v1, s17, v3
	v_mov_b32_e32 v0, 0
	v_cmp_ne_u64_e32 vcc, 0, v[0:1]
                                        ; implicit-def: $vgpr0_vgpr1
	s_and_saveexec_b64 s[2:3], vcc
	s_xor_b64 s[44:45], exec, s[2:3]
	s_cbranch_execz .LBB7_65
; %bb.64:
	s_ashr_i32 s46, s17, 31
	s_add_u32 s2, s16, s46
	s_mov_b32 s47, s46
	s_addc_u32 s3, s17, s46
	s_xor_b64 s[48:49], s[2:3], s[46:47]
	v_cvt_f32_u32_e32 v0, s48
	v_cvt_f32_u32_e32 v1, s49
	s_sub_u32 s24, 0, s48
	s_subb_u32 s47, 0, s49
	v_ashrrev_i32_e32 v5, 31, v3
	v_madmk_f32 v0, v1, 0x4f800000, v0
	v_rcp_f32_e32 v0, v0
	v_mul_f32_e32 v0, 0x5f7ffffc, v0
	v_mul_f32_e32 v1, 0x2f800000, v0
	v_trunc_f32_e32 v1, v1
	v_madmk_f32 v0, v1, 0xcf800000, v0
	v_cvt_u32_f32_e32 v1, v1
	v_cvt_u32_f32_e32 v0, v0
	v_readfirstlane_b32 s52, v1
	v_readfirstlane_b32 s2, v0
	s_mul_i32 s3, s24, s52
	s_mul_hi_u32 s54, s24, s2
	s_mul_i32 s53, s47, s2
	s_add_i32 s3, s54, s3
	s_add_i32 s3, s3, s53
	s_mul_i32 s55, s24, s2
	s_mul_i32 s54, s2, s3
	s_mul_hi_u32 s56, s2, s55
	s_mul_hi_u32 s53, s2, s3
	s_add_u32 s54, s56, s54
	s_addc_u32 s53, 0, s53
	s_mul_hi_u32 s57, s52, s55
	s_mul_i32 s55, s52, s55
	s_add_u32 s54, s54, s55
	s_mul_hi_u32 s56, s52, s3
	s_addc_u32 s53, s53, s57
	s_addc_u32 s54, s56, 0
	s_mul_i32 s3, s52, s3
	s_add_u32 s3, s53, s3
	s_addc_u32 s53, 0, s54
	s_add_u32 s54, s2, s3
	s_cselect_b64 s[2:3], -1, 0
	s_cmp_lg_u64 s[2:3], 0
	s_addc_u32 s52, s52, s53
	s_mul_i32 s2, s24, s52
	s_mul_hi_u32 s3, s24, s54
	s_add_i32 s2, s3, s2
	s_mul_i32 s47, s47, s54
	s_add_i32 s2, s2, s47
	s_mul_i32 s24, s24, s54
	s_mul_hi_u32 s47, s52, s24
	s_mul_i32 s53, s52, s24
	s_mul_i32 s56, s54, s2
	s_mul_hi_u32 s24, s54, s24
	s_mul_hi_u32 s55, s54, s2
	s_add_u32 s24, s24, s56
	s_addc_u32 s55, 0, s55
	s_add_u32 s24, s24, s53
	s_mul_hi_u32 s3, s52, s2
	s_addc_u32 s24, s55, s47
	s_addc_u32 s3, s3, 0
	s_mul_i32 s2, s52, s2
	s_add_u32 s2, s24, s2
	s_addc_u32 s24, 0, s3
	s_add_u32 s47, s54, s2
	s_cselect_b64 s[2:3], -1, 0
	s_cmp_lg_u64 s[2:3], 0
	v_add_co_u32_e32 v0, vcc, v2, v5
	s_addc_u32 s24, s52, s24
	v_xor_b32_e32 v9, v0, v5
	v_addc_co_u32_e32 v2, vcc, v3, v5, vcc
	v_mad_u64_u32 v[0:1], s[2:3], v9, s24, 0
	v_mul_hi_u32 v3, v9, s47
	v_xor_b32_e32 v10, v2, v5
	v_add_co_u32_e32 v11, vcc, v3, v0
	v_addc_co_u32_e32 v12, vcc, 0, v1, vcc
	v_mad_u64_u32 v[0:1], s[2:3], v10, s47, 0
	v_mad_u64_u32 v[2:3], s[2:3], v10, s24, 0
	v_add_co_u32_e32 v0, vcc, v11, v0
	v_addc_co_u32_e32 v0, vcc, v12, v1, vcc
	v_addc_co_u32_e32 v1, vcc, 0, v3, vcc
	v_add_co_u32_e32 v2, vcc, v0, v2
	v_addc_co_u32_e32 v3, vcc, 0, v1, vcc
	v_mul_lo_u32 v11, s49, v2
	v_mul_lo_u32 v12, s48, v3
	v_mad_u64_u32 v[0:1], s[2:3], s48, v2, 0
	v_add3_u32 v1, v1, v12, v11
	v_sub_u32_e32 v11, v10, v1
	v_mov_b32_e32 v12, s49
	v_sub_co_u32_e32 v0, vcc, v9, v0
	v_subb_co_u32_e64 v9, s[2:3], v11, v12, vcc
	v_subrev_co_u32_e64 v11, s[2:3], s48, v0
	v_subbrev_co_u32_e64 v9, s[2:3], 0, v9, s[2:3]
	v_cmp_le_u32_e64 s[2:3], s49, v9
	v_cndmask_b32_e64 v12, 0, -1, s[2:3]
	v_cmp_le_u32_e64 s[2:3], s48, v11
	v_cndmask_b32_e64 v11, 0, -1, s[2:3]
	v_cmp_eq_u32_e64 s[2:3], s49, v9
	v_cndmask_b32_e64 v9, v12, v11, s[2:3]
	v_add_co_u32_e64 v11, s[2:3], 2, v2
	v_subb_co_u32_e32 v1, vcc, v10, v1, vcc
	v_addc_co_u32_e64 v12, s[2:3], 0, v3, s[2:3]
	v_cmp_le_u32_e32 vcc, s49, v1
	v_add_co_u32_e64 v14, s[2:3], 1, v2
	v_cndmask_b32_e64 v10, 0, -1, vcc
	v_cmp_le_u32_e32 vcc, s48, v0
	v_addc_co_u32_e64 v15, s[2:3], 0, v3, s[2:3]
	v_cndmask_b32_e64 v0, 0, -1, vcc
	v_cmp_eq_u32_e32 vcc, s49, v1
	v_cmp_ne_u32_e64 s[2:3], 0, v9
	v_cndmask_b32_e32 v0, v10, v0, vcc
	v_cndmask_b32_e64 v9, v15, v12, s[2:3]
	v_cmp_ne_u32_e32 vcc, 0, v0
	v_cndmask_b32_e64 v1, v14, v11, s[2:3]
	v_cndmask_b32_e32 v0, v3, v9, vcc
	v_cndmask_b32_e32 v1, v2, v1, vcc
	v_xor_b32_e32 v2, s46, v5
	v_xor_b32_e32 v3, v0, v2
	;; [unrolled: 1-line block ×3, first 2 shown]
	v_sub_co_u32_e32 v0, vcc, v0, v2
	v_subb_co_u32_e32 v1, vcc, v3, v2, vcc
                                        ; implicit-def: $vgpr2
.LBB7_65:
	s_andn2_saveexec_b64 s[2:3], s[44:45]
	s_cbranch_execz .LBB7_67
; %bb.66:
	v_cvt_f32_u32_e32 v0, s16
	s_sub_i32 s24, 0, s16
	v_rcp_iflag_f32_e32 v0, v0
	v_mul_f32_e32 v0, 0x4f7ffffe, v0
	v_cvt_u32_f32_e32 v0, v0
	v_mul_lo_u32 v1, s24, v0
	v_mul_hi_u32 v1, v0, v1
	v_add_u32_e32 v0, v0, v1
	v_mul_hi_u32 v0, v2, v0
	v_mul_lo_u32 v1, v0, s16
	v_add_u32_e32 v3, 1, v0
	v_sub_u32_e32 v1, v2, v1
	v_subrev_u32_e32 v2, s16, v1
	v_cmp_le_u32_e32 vcc, s16, v1
	v_cndmask_b32_e32 v1, v1, v2, vcc
	v_cndmask_b32_e32 v0, v0, v3, vcc
	v_add_u32_e32 v2, 1, v0
	v_cmp_le_u32_e32 vcc, s16, v1
	v_cndmask_b32_e32 v0, v0, v2, vcc
	v_mov_b32_e32 v1, 0
.LBB7_67:
	s_or_b64 exec, exec, s[2:3]
.LBB7_68:
	s_or_b64 exec, exec, s[42:43]
	v_or_b32_e32 v3, s17, v8
	v_mov_b32_e32 v2, 0
	v_cmp_ne_u64_e32 vcc, 0, v[2:3]
                                        ; implicit-def: $vgpr2_vgpr3
	s_and_saveexec_b64 s[2:3], vcc
	s_xor_b64 s[42:43], exec, s[2:3]
	s_cbranch_execz .LBB7_70
; %bb.69:
	s_ashr_i32 s44, s17, 31
	s_add_u32 s2, s16, s44
	s_mov_b32 s45, s44
	s_addc_u32 s3, s17, s44
	s_xor_b64 s[46:47], s[2:3], s[44:45]
	v_cvt_f32_u32_e32 v2, s46
	v_cvt_f32_u32_e32 v3, s47
	s_sub_u32 s24, 0, s46
	s_subb_u32 s45, 0, s47
	v_ashrrev_i32_e32 v5, 31, v8
	v_madmk_f32 v2, v3, 0x4f800000, v2
	v_rcp_f32_e32 v2, v2
	v_mul_f32_e32 v2, 0x5f7ffffc, v2
	v_mul_f32_e32 v3, 0x2f800000, v2
	v_trunc_f32_e32 v3, v3
	v_madmk_f32 v2, v3, 0xcf800000, v2
	v_cvt_u32_f32_e32 v3, v3
	v_cvt_u32_f32_e32 v2, v2
	v_readfirstlane_b32 s48, v3
	v_readfirstlane_b32 s2, v2
	s_mul_i32 s3, s24, s48
	s_mul_hi_u32 s52, s24, s2
	s_mul_i32 s49, s45, s2
	s_add_i32 s3, s52, s3
	s_add_i32 s3, s3, s49
	s_mul_i32 s53, s24, s2
	s_mul_i32 s52, s2, s3
	s_mul_hi_u32 s54, s2, s53
	s_mul_hi_u32 s49, s2, s3
	s_add_u32 s52, s54, s52
	s_addc_u32 s49, 0, s49
	s_mul_hi_u32 s55, s48, s53
	s_mul_i32 s53, s48, s53
	s_add_u32 s52, s52, s53
	s_mul_hi_u32 s54, s48, s3
	s_addc_u32 s49, s49, s55
	s_addc_u32 s52, s54, 0
	s_mul_i32 s3, s48, s3
	s_add_u32 s3, s49, s3
	s_addc_u32 s49, 0, s52
	s_add_u32 s52, s2, s3
	s_cselect_b64 s[2:3], -1, 0
	s_cmp_lg_u64 s[2:3], 0
	s_addc_u32 s48, s48, s49
	s_mul_i32 s2, s24, s48
	s_mul_hi_u32 s3, s24, s52
	s_add_i32 s2, s3, s2
	s_mul_i32 s45, s45, s52
	s_add_i32 s2, s2, s45
	s_mul_i32 s24, s24, s52
	s_mul_hi_u32 s45, s48, s24
	s_mul_i32 s49, s48, s24
	s_mul_i32 s54, s52, s2
	s_mul_hi_u32 s24, s52, s24
	s_mul_hi_u32 s53, s52, s2
	s_add_u32 s24, s24, s54
	s_addc_u32 s53, 0, s53
	s_add_u32 s24, s24, s49
	s_mul_hi_u32 s3, s48, s2
	s_addc_u32 s24, s53, s45
	s_addc_u32 s3, s3, 0
	s_mul_i32 s2, s48, s2
	s_add_u32 s2, s24, s2
	s_addc_u32 s24, 0, s3
	s_add_u32 s45, s52, s2
	s_cselect_b64 s[2:3], -1, 0
	s_cmp_lg_u64 s[2:3], 0
	v_add_co_u32_e32 v2, vcc, v7, v5
	s_addc_u32 s24, s48, s24
	v_xor_b32_e32 v11, v2, v5
	v_mad_u64_u32 v[2:3], s[2:3], v11, s24, 0
	v_mul_hi_u32 v10, v11, s45
	v_addc_co_u32_e32 v9, vcc, v8, v5, vcc
	v_xor_b32_e32 v12, v9, v5
	v_add_co_u32_e32 v14, vcc, v10, v2
	v_addc_co_u32_e32 v15, vcc, 0, v3, vcc
	v_mad_u64_u32 v[2:3], s[2:3], v12, s45, 0
	v_mad_u64_u32 v[9:10], s[2:3], v12, s24, 0
	v_add_co_u32_e32 v2, vcc, v14, v2
	v_addc_co_u32_e32 v2, vcc, v15, v3, vcc
	v_addc_co_u32_e32 v3, vcc, 0, v10, vcc
	v_add_co_u32_e32 v9, vcc, v2, v9
	v_addc_co_u32_e32 v10, vcc, 0, v3, vcc
	v_mul_lo_u32 v14, s47, v9
	v_mul_lo_u32 v15, s46, v10
	v_mad_u64_u32 v[2:3], s[2:3], s46, v9, 0
	v_xor_b32_e32 v5, s44, v5
	v_add3_u32 v3, v3, v15, v14
	v_sub_u32_e32 v14, v12, v3
	v_mov_b32_e32 v15, s47
	v_sub_co_u32_e32 v2, vcc, v11, v2
	v_subb_co_u32_e64 v11, s[2:3], v14, v15, vcc
	v_subrev_co_u32_e64 v14, s[2:3], s46, v2
	v_subbrev_co_u32_e64 v11, s[2:3], 0, v11, s[2:3]
	v_cmp_le_u32_e64 s[2:3], s47, v11
	v_cndmask_b32_e64 v15, 0, -1, s[2:3]
	v_cmp_le_u32_e64 s[2:3], s46, v14
	v_cndmask_b32_e64 v14, 0, -1, s[2:3]
	v_cmp_eq_u32_e64 s[2:3], s47, v11
	v_cndmask_b32_e64 v11, v15, v14, s[2:3]
	v_add_co_u32_e64 v14, s[2:3], 2, v9
	v_subb_co_u32_e32 v3, vcc, v12, v3, vcc
	v_addc_co_u32_e64 v15, s[2:3], 0, v10, s[2:3]
	v_cmp_le_u32_e32 vcc, s47, v3
	v_add_co_u32_e64 v16, s[2:3], 1, v9
	v_cndmask_b32_e64 v12, 0, -1, vcc
	v_cmp_le_u32_e32 vcc, s46, v2
	v_addc_co_u32_e64 v17, s[2:3], 0, v10, s[2:3]
	v_cndmask_b32_e64 v2, 0, -1, vcc
	v_cmp_eq_u32_e32 vcc, s47, v3
	v_cmp_ne_u32_e64 s[2:3], 0, v11
	v_cndmask_b32_e32 v2, v12, v2, vcc
	v_cndmask_b32_e64 v11, v17, v15, s[2:3]
	v_cmp_ne_u32_e32 vcc, 0, v2
	v_cndmask_b32_e64 v3, v16, v14, s[2:3]
	v_cndmask_b32_e32 v2, v10, v11, vcc
	v_cndmask_b32_e32 v3, v9, v3, vcc
	v_xor_b32_e32 v9, v2, v5
	v_xor_b32_e32 v2, v3, v5
	v_sub_co_u32_e32 v2, vcc, v2, v5
	v_subb_co_u32_e32 v3, vcc, v9, v5, vcc
.LBB7_70:
	s_andn2_saveexec_b64 s[2:3], s[42:43]
	s_cbranch_execz .LBB7_72
; %bb.71:
	v_cvt_f32_u32_e32 v2, s16
	s_sub_i32 s24, 0, s16
	v_rcp_iflag_f32_e32 v2, v2
	v_mul_f32_e32 v2, 0x4f7ffffe, v2
	v_cvt_u32_f32_e32 v2, v2
	v_mul_lo_u32 v3, s24, v2
	v_mul_hi_u32 v3, v2, v3
	v_add_u32_e32 v2, v2, v3
	v_mul_hi_u32 v2, v7, v2
	v_mul_lo_u32 v3, v2, s16
	v_add_u32_e32 v5, 1, v2
	v_sub_u32_e32 v3, v7, v3
	v_subrev_u32_e32 v9, s16, v3
	v_cmp_le_u32_e32 vcc, s16, v3
	v_cndmask_b32_e32 v3, v3, v9, vcc
	v_cndmask_b32_e32 v2, v2, v5, vcc
	v_add_u32_e32 v5, 1, v2
	v_cmp_le_u32_e32 vcc, s16, v3
	v_cndmask_b32_e32 v2, v2, v5, vcc
	v_mov_b32_e32 v3, 0
.LBB7_72:
	s_or_b64 exec, exec, s[2:3]
	v_mul_lo_u32 v5, v1, s16
	v_mul_lo_u32 v11, v0, s17
	v_mad_u64_u32 v[9:10], s[2:3], v0, s16, 0
	v_add3_u32 v10, v10, v11, v5
	v_cmp_gt_i64_e32 vcc, v[9:10], v[7:8]
	v_mov_b32_e32 v5, s15
	v_add_co_u32_e64 v9, s[2:3], s14, v9
	v_addc_co_u32_e64 v10, s[2:3], v10, v5, s[2:3]
	v_cmp_ge_i64_e64 s[2:3], v[7:8], v[9:10]
	s_or_b64 s[2:3], vcc, s[2:3]
	v_cndmask_b32_e64 v5, 0, 1, s[2:3]
	v_add_co_u32_e32 v11, vcc, v0, v5
	v_addc_co_u32_e32 v12, vcc, 0, v1, vcc
	v_cmp_gt_i64_e32 vcc, s[4:5], v[2:3]
	v_mov_b32_e32 v0, s5
	v_cndmask_b32_e32 v10, v0, v3, vcc
	v_mov_b32_e32 v0, s4
	v_cndmask_b32_e32 v9, v0, v2, vcc
	v_cmp_le_i64_e32 vcc, v[11:12], v[9:10]
	s_and_saveexec_b64 s[42:43], vcc
	s_cbranch_execz .LBB7_75
; %bb.73:
	global_load_dwordx4 v[0:3], v6, s[8:9]
	v_mul_lo_u32 v17, s17, v11
	v_mul_lo_u32 v18, s16, v12
	v_mad_u64_u32 v[14:15], s[2:3], s16, v11, 0
	v_mov_b32_e32 v16, s9
	v_add_co_u32_e32 v5, vcc, s8, v6
	v_addc_co_u32_e32 v6, vcc, 0, v16, vcc
	v_add3_u32 v15, v15, v18, v17
	v_sub_co_u32_e32 v7, vcc, v7, v14
	v_subb_co_u32_e32 v8, vcc, v8, v15, vcc
	v_mul_lo_u32 v18, s23, v7
	v_mul_lo_u32 v19, s22, v8
	v_mad_u64_u32 v[14:15], s[2:3], s22, v7, 0
	v_mul_lo_u32 v20, s21, v11
	v_mul_lo_u32 v21, s20, v12
	v_mad_u64_u32 v[16:17], s[2:3], s20, v11, 0
	v_add_co_u32_e32 v7, vcc, -1, v11
	v_add3_u32 v15, v15, v19, v18
	v_add3_u32 v17, v17, v21, v20
	v_addc_co_u32_e32 v8, vcc, -1, v12, vcc
	v_lshlrev_b64 v[11:12], 4, v[14:15]
	v_lshlrev_b64 v[14:15], 4, v[16:17]
	s_mul_i32 s24, s16, s23
	v_add_co_u32_e32 v11, vcc, v11, v14
	v_addc_co_u32_e32 v12, vcc, v12, v15, vcc
	v_add_co_u32_e32 v4, vcc, v11, v4
	s_mul_hi_u32 s44, s16, s22
	v_addc_co_u32_e32 v11, vcc, 0, v12, vcc
	s_add_i32 s24, s44, s24
	s_mul_i32 s44, s17, s22
	v_mov_b32_e32 v12, s11
	v_add_co_u32_e32 v4, vcc, s10, v4
	s_add_i32 s45, s24, s44
	s_mul_i32 s44, s16, s22
	v_addc_co_u32_e32 v12, vcc, v12, v11, vcc
	s_lshl_b64 s[2:3], s[20:21], 4
	s_lshl_b64 s[44:45], s[44:45], 4
	v_add_co_u32_e32 v11, vcc, 8, v4
	s_sub_u32 s24, s2, s44
	v_addc_co_u32_e32 v12, vcc, 0, v12, vcc
	s_subb_u32 s46, s3, s45
	s_mov_b64 s[44:45], 0
.LBB7_74:                               ; =>This Inner Loop Header: Depth=1
	global_load_dwordx4 v[14:17], v[11:12], off offset:-8
	v_add_co_u32_e32 v7, vcc, 1, v7
	v_addc_co_u32_e32 v8, vcc, 0, v8, vcc
	v_cmp_ge_i64_e64 s[2:3], v[7:8], v[9:10]
	v_mov_b32_e32 v4, s46
	v_add_co_u32_e32 v11, vcc, s24, v11
	v_addc_co_u32_e32 v12, vcc, v12, v4, vcc
	s_or_b64 s[44:45], s[2:3], s[44:45]
	s_waitcnt vmcnt(0)
	v_add_f64 v[0:1], v[0:1], v[14:15]
	v_add_f64 v[2:3], v[2:3], v[16:17]
	global_store_dwordx4 v[5:6], v[0:3], off
	s_andn2_b64 exec, exec, s[44:45]
	s_cbranch_execnz .LBB7_74
.LBB7_75:
	s_or_b64 exec, exec, s[42:43]
	v_add_u32_e32 v13, 0x100, v13
	s_or_b64 exec, exec, s[18:19]
	v_cmp_gt_i32_e32 vcc, s51, v13
	s_and_saveexec_b64 s[2:3], vcc
	s_cbranch_execz .LBB7_99
.LBB7_76:
	s_and_b64 vcc, exec, s[0:1]
	s_cbranch_vccnz .LBB7_83
; %bb.77:
	v_mov_b32_e32 v6, 0
	s_andn2_b64 vcc, exec, s[40:41]
	v_mov_b32_e32 v4, 0
	v_mov_b32_e32 v0, 0
	s_cbranch_vccnz .LBB7_82
; %bb.78:
	s_add_i32 s0, s31, 1
	s_and_b32 s2, s0, 30
	s_add_u32 s0, s33, 0xffffffe8
	s_addc_u32 s1, s50, -1
	v_mov_b32_e32 v0, 0
	v_mov_b32_e32 v4, 0
	;; [unrolled: 1-line block ×4, first 2 shown]
.LBB7_79:                               ; =>This Inner Loop Header: Depth=1
	s_load_dwordx4 s[40:43], s[0:1], 0x1c
	s_load_dwordx2 s[18:19], s[0:1], 0x2c
	s_load_dwordx2 s[48:49], s[0:1], 0xec
	s_load_dwordx4 s[44:47], s[0:1], 0xdc
	s_add_u32 s0, s0, 24
	s_waitcnt lgkmcnt(0)
	v_mul_hi_u32 v2, s41, v1
	s_addc_u32 s1, s1, 0
	s_add_i32 s2, s2, -2
	s_cmp_eq_u32 s2, 0
	v_add_u32_e32 v2, v1, v2
	v_lshrrev_b32_e32 v2, s42, v2
	v_mul_lo_u32 v3, v2, s40
	v_mul_hi_u32 v5, s18, v2
	v_sub_u32_e32 v3, v1, v3
	v_add_u32_e32 v1, v2, v5
	v_lshrrev_b32_e32 v1, s19, v1
	v_mul_lo_u32 v8, v1, s43
	v_mul_lo_u32 v5, v3, s44
	v_mul_lo_u32 v7, v3, s45
	v_mul_lo_u32 v3, v3, s46
	v_sub_u32_e32 v2, v2, v8
	v_mul_lo_u32 v8, v2, s47
	v_mul_lo_u32 v9, v2, s48
	v_mul_lo_u32 v2, v2, s49
	v_add3_u32 v6, v5, v6, v8
	v_add3_u32 v4, v7, v4, v9
	;; [unrolled: 1-line block ×3, first 2 shown]
	s_cbranch_scc0 .LBB7_79
; %bb.80:
	s_bitcmp1_b32 s31, 0
	s_cselect_b64 s[2:3], -1, 0
	s_and_b64 vcc, exec, s[2:3]
	s_cbranch_vccnz .LBB7_82
; %bb.81:
	s_load_dwordx2 s[2:3], s[0:1], 0x1c
	s_load_dword s24, s[0:1], 0x24
	s_load_dwordx2 s[18:19], s[0:1], 0xdc
	s_waitcnt lgkmcnt(0)
	v_mul_hi_u32 v2, s3, v1
	v_add_u32_e32 v2, v1, v2
	v_lshrrev_b32_e32 v2, s24, v2
	v_mul_lo_u32 v2, v2, s2
	s_load_dword s2, s[0:1], 0xe4
	v_sub_u32_e32 v1, v1, v2
	v_mad_u64_u32 v[6:7], s[0:1], v1, s18, v[6:7]
	v_mad_u64_u32 v[4:5], s[0:1], v1, s19, v[4:5]
	s_waitcnt lgkmcnt(0)
	v_mad_u64_u32 v[0:1], s[0:1], v1, s2, v[0:1]
.LBB7_82:
	s_cbranch_execz .LBB7_84
	s_branch .LBB7_86
.LBB7_83:
                                        ; implicit-def: $vgpr6
                                        ; implicit-def: $vgpr4
                                        ; implicit-def: $vgpr0
.LBB7_84:
	v_mul_hi_u32 v0, s26, v13
	s_andn2_b64 vcc, exec, s[34:35]
	v_add_u32_e32 v0, v13, v0
	v_lshrrev_b32_e32 v1, s27, v0
	v_mul_lo_u32 v0, v1, s25
	v_sub_u32_e32 v0, v13, v0
	v_mul_lo_u32 v6, v0, s36
	v_mul_lo_u32 v4, v0, s37
	;; [unrolled: 1-line block ×3, first 2 shown]
	s_cbranch_vccnz .LBB7_86
; %bb.85:
	v_mul_hi_u32 v2, s29, v1
	v_add_u32_e32 v2, v1, v2
	v_lshrrev_b32_e32 v2, s30, v2
	v_mul_lo_u32 v2, v2, s28
	v_sub_u32_e32 v1, v1, v2
	v_mad_u64_u32 v[6:7], s[0:1], v1, s39, v[6:7]
	v_mad_u64_u32 v[4:5], s[0:1], v1, s6, v[4:5]
	;; [unrolled: 1-line block ×3, first 2 shown]
.LBB7_86:
	global_load_dwordx2 v[7:8], v0, s[12:13]
	v_mov_b32_e32 v0, 0
	v_mov_b32_e32 v1, 0
	s_waitcnt vmcnt(0)
	v_cmp_lt_i64_e32 vcc, s[14:15], v[7:8]
	s_and_saveexec_b64 s[2:3], vcc
	s_cbranch_execz .LBB7_92
; %bb.87:
	v_mov_b32_e32 v0, s15
	v_subrev_co_u32_e32 v2, vcc, s14, v7
	v_subb_co_u32_e32 v3, vcc, v8, v0, vcc
	v_or_b32_e32 v1, s17, v3
	v_mov_b32_e32 v0, 0
	v_cmp_ne_u64_e32 vcc, 0, v[0:1]
                                        ; implicit-def: $vgpr0_vgpr1
	s_and_saveexec_b64 s[0:1], vcc
	s_xor_b64 s[6:7], exec, s[0:1]
	s_cbranch_execz .LBB7_89
; %bb.88:
	s_ashr_i32 s12, s17, 31
	s_add_u32 s0, s16, s12
	s_mov_b32 s13, s12
	s_addc_u32 s1, s17, s12
	s_xor_b64 s[18:19], s[0:1], s[12:13]
	v_cvt_f32_u32_e32 v0, s18
	v_cvt_f32_u32_e32 v1, s19
	s_sub_u32 s13, 0, s18
	s_subb_u32 s24, 0, s19
	v_ashrrev_i32_e32 v5, 31, v3
	v_madmk_f32 v0, v1, 0x4f800000, v0
	v_rcp_f32_e32 v0, v0
	v_mul_f32_e32 v0, 0x5f7ffffc, v0
	v_mul_f32_e32 v1, 0x2f800000, v0
	v_trunc_f32_e32 v1, v1
	v_madmk_f32 v0, v1, 0xcf800000, v0
	v_cvt_u32_f32_e32 v1, v1
	v_cvt_u32_f32_e32 v0, v0
	v_readfirstlane_b32 s25, v1
	v_readfirstlane_b32 s0, v0
	s_mul_i32 s1, s13, s25
	s_mul_hi_u32 s27, s13, s0
	s_mul_i32 s26, s24, s0
	s_add_i32 s1, s27, s1
	s_add_i32 s1, s1, s26
	s_mul_i32 s28, s13, s0
	s_mul_i32 s27, s0, s1
	s_mul_hi_u32 s29, s0, s28
	s_mul_hi_u32 s26, s0, s1
	s_add_u32 s27, s29, s27
	s_addc_u32 s26, 0, s26
	s_mul_hi_u32 s30, s25, s28
	s_mul_i32 s28, s25, s28
	s_add_u32 s27, s27, s28
	s_mul_hi_u32 s29, s25, s1
	s_addc_u32 s26, s26, s30
	s_addc_u32 s27, s29, 0
	s_mul_i32 s1, s25, s1
	s_add_u32 s1, s26, s1
	s_addc_u32 s26, 0, s27
	s_add_u32 s27, s0, s1
	s_cselect_b64 s[0:1], -1, 0
	s_cmp_lg_u64 s[0:1], 0
	s_addc_u32 s25, s25, s26
	s_mul_i32 s0, s13, s25
	s_mul_hi_u32 s1, s13, s27
	s_add_i32 s0, s1, s0
	s_mul_i32 s24, s24, s27
	s_add_i32 s0, s0, s24
	s_mul_i32 s13, s13, s27
	s_mul_hi_u32 s24, s25, s13
	s_mul_i32 s26, s25, s13
	s_mul_i32 s29, s27, s0
	s_mul_hi_u32 s13, s27, s13
	s_mul_hi_u32 s28, s27, s0
	s_add_u32 s13, s13, s29
	s_addc_u32 s28, 0, s28
	s_add_u32 s13, s13, s26
	s_mul_hi_u32 s1, s25, s0
	s_addc_u32 s13, s28, s24
	s_addc_u32 s1, s1, 0
	s_mul_i32 s0, s25, s0
	s_add_u32 s0, s13, s0
	s_addc_u32 s13, 0, s1
	s_add_u32 s24, s27, s0
	s_cselect_b64 s[0:1], -1, 0
	s_cmp_lg_u64 s[0:1], 0
	v_add_co_u32_e32 v0, vcc, v2, v5
	s_addc_u32 s13, s25, s13
	v_xor_b32_e32 v9, v0, v5
	v_addc_co_u32_e32 v2, vcc, v3, v5, vcc
	v_mad_u64_u32 v[0:1], s[0:1], v9, s13, 0
	v_mul_hi_u32 v3, v9, s24
	v_xor_b32_e32 v10, v2, v5
	v_add_co_u32_e32 v11, vcc, v3, v0
	v_addc_co_u32_e32 v12, vcc, 0, v1, vcc
	v_mad_u64_u32 v[0:1], s[0:1], v10, s24, 0
	v_mad_u64_u32 v[2:3], s[0:1], v10, s13, 0
	v_add_co_u32_e32 v0, vcc, v11, v0
	v_addc_co_u32_e32 v0, vcc, v12, v1, vcc
	v_addc_co_u32_e32 v1, vcc, 0, v3, vcc
	v_add_co_u32_e32 v2, vcc, v0, v2
	v_addc_co_u32_e32 v3, vcc, 0, v1, vcc
	v_mul_lo_u32 v11, s19, v2
	v_mul_lo_u32 v12, s18, v3
	v_mad_u64_u32 v[0:1], s[0:1], s18, v2, 0
	v_add3_u32 v1, v1, v12, v11
	v_sub_u32_e32 v11, v10, v1
	v_mov_b32_e32 v12, s19
	v_sub_co_u32_e32 v0, vcc, v9, v0
	v_subb_co_u32_e64 v9, s[0:1], v11, v12, vcc
	v_subrev_co_u32_e64 v11, s[0:1], s18, v0
	v_subbrev_co_u32_e64 v9, s[0:1], 0, v9, s[0:1]
	v_cmp_le_u32_e64 s[0:1], s19, v9
	v_cndmask_b32_e64 v12, 0, -1, s[0:1]
	v_cmp_le_u32_e64 s[0:1], s18, v11
	v_cndmask_b32_e64 v11, 0, -1, s[0:1]
	v_cmp_eq_u32_e64 s[0:1], s19, v9
	v_cndmask_b32_e64 v9, v12, v11, s[0:1]
	v_add_co_u32_e64 v11, s[0:1], 2, v2
	v_subb_co_u32_e32 v1, vcc, v10, v1, vcc
	v_addc_co_u32_e64 v12, s[0:1], 0, v3, s[0:1]
	v_cmp_le_u32_e32 vcc, s19, v1
	v_add_co_u32_e64 v13, s[0:1], 1, v2
	v_cndmask_b32_e64 v10, 0, -1, vcc
	v_cmp_le_u32_e32 vcc, s18, v0
	v_addc_co_u32_e64 v14, s[0:1], 0, v3, s[0:1]
	v_cndmask_b32_e64 v0, 0, -1, vcc
	v_cmp_eq_u32_e32 vcc, s19, v1
	v_cmp_ne_u32_e64 s[0:1], 0, v9
	v_cndmask_b32_e32 v0, v10, v0, vcc
	v_cndmask_b32_e64 v9, v14, v12, s[0:1]
	v_cmp_ne_u32_e32 vcc, 0, v0
	v_cndmask_b32_e64 v1, v13, v11, s[0:1]
	v_cndmask_b32_e32 v0, v3, v9, vcc
	v_cndmask_b32_e32 v1, v2, v1, vcc
	v_xor_b32_e32 v2, s12, v5
	v_xor_b32_e32 v3, v0, v2
	;; [unrolled: 1-line block ×3, first 2 shown]
	v_sub_co_u32_e32 v0, vcc, v0, v2
	v_subb_co_u32_e32 v1, vcc, v3, v2, vcc
                                        ; implicit-def: $vgpr2
.LBB7_89:
	s_andn2_saveexec_b64 s[0:1], s[6:7]
	s_cbranch_execz .LBB7_91
; %bb.90:
	v_cvt_f32_u32_e32 v0, s16
	s_sub_i32 s6, 0, s16
	v_rcp_iflag_f32_e32 v0, v0
	v_mul_f32_e32 v0, 0x4f7ffffe, v0
	v_cvt_u32_f32_e32 v0, v0
	v_mul_lo_u32 v1, s6, v0
	v_mul_hi_u32 v1, v0, v1
	v_add_u32_e32 v0, v0, v1
	v_mul_hi_u32 v0, v2, v0
	v_mul_lo_u32 v1, v0, s16
	v_add_u32_e32 v3, 1, v0
	v_sub_u32_e32 v1, v2, v1
	v_subrev_u32_e32 v2, s16, v1
	v_cmp_le_u32_e32 vcc, s16, v1
	v_cndmask_b32_e32 v1, v1, v2, vcc
	v_cndmask_b32_e32 v0, v0, v3, vcc
	v_add_u32_e32 v2, 1, v0
	v_cmp_le_u32_e32 vcc, s16, v1
	v_cndmask_b32_e32 v0, v0, v2, vcc
	v_mov_b32_e32 v1, 0
.LBB7_91:
	s_or_b64 exec, exec, s[0:1]
.LBB7_92:
	s_or_b64 exec, exec, s[2:3]
	v_or_b32_e32 v3, s17, v8
	v_mov_b32_e32 v2, 0
	v_cmp_ne_u64_e32 vcc, 0, v[2:3]
                                        ; implicit-def: $vgpr2_vgpr3
	s_and_saveexec_b64 s[0:1], vcc
	s_xor_b64 s[2:3], exec, s[0:1]
	s_cbranch_execz .LBB7_94
; %bb.93:
	s_ashr_i32 s6, s17, 31
	s_add_u32 s0, s16, s6
	s_mov_b32 s7, s6
	s_addc_u32 s1, s17, s6
	s_xor_b64 s[12:13], s[0:1], s[6:7]
	v_cvt_f32_u32_e32 v2, s12
	v_cvt_f32_u32_e32 v3, s13
	s_sub_u32 s7, 0, s12
	s_subb_u32 s18, 0, s13
	v_ashrrev_i32_e32 v5, 31, v8
	v_madmk_f32 v2, v3, 0x4f800000, v2
	v_rcp_f32_e32 v2, v2
	v_mul_f32_e32 v2, 0x5f7ffffc, v2
	v_mul_f32_e32 v3, 0x2f800000, v2
	v_trunc_f32_e32 v3, v3
	v_madmk_f32 v2, v3, 0xcf800000, v2
	v_cvt_u32_f32_e32 v3, v3
	v_cvt_u32_f32_e32 v2, v2
	v_readfirstlane_b32 s19, v3
	v_readfirstlane_b32 s0, v2
	s_mul_i32 s1, s7, s19
	s_mul_hi_u32 s25, s7, s0
	s_mul_i32 s24, s18, s0
	s_add_i32 s1, s25, s1
	s_add_i32 s1, s1, s24
	s_mul_i32 s26, s7, s0
	s_mul_i32 s25, s0, s1
	s_mul_hi_u32 s27, s0, s26
	s_mul_hi_u32 s24, s0, s1
	s_add_u32 s25, s27, s25
	s_addc_u32 s24, 0, s24
	s_mul_hi_u32 s28, s19, s26
	s_mul_i32 s26, s19, s26
	s_add_u32 s25, s25, s26
	s_mul_hi_u32 s27, s19, s1
	s_addc_u32 s24, s24, s28
	s_addc_u32 s25, s27, 0
	s_mul_i32 s1, s19, s1
	s_add_u32 s1, s24, s1
	s_addc_u32 s24, 0, s25
	s_add_u32 s25, s0, s1
	s_cselect_b64 s[0:1], -1, 0
	s_cmp_lg_u64 s[0:1], 0
	s_addc_u32 s19, s19, s24
	s_mul_i32 s0, s7, s19
	s_mul_hi_u32 s1, s7, s25
	s_add_i32 s0, s1, s0
	s_mul_i32 s18, s18, s25
	s_add_i32 s0, s0, s18
	s_mul_i32 s7, s7, s25
	s_mul_hi_u32 s18, s19, s7
	s_mul_i32 s24, s19, s7
	s_mul_i32 s27, s25, s0
	s_mul_hi_u32 s7, s25, s7
	s_mul_hi_u32 s26, s25, s0
	s_add_u32 s7, s7, s27
	s_addc_u32 s26, 0, s26
	s_add_u32 s7, s7, s24
	s_mul_hi_u32 s1, s19, s0
	s_addc_u32 s7, s26, s18
	s_addc_u32 s1, s1, 0
	s_mul_i32 s0, s19, s0
	s_add_u32 s0, s7, s0
	s_addc_u32 s7, 0, s1
	s_add_u32 s18, s25, s0
	s_cselect_b64 s[0:1], -1, 0
	s_cmp_lg_u64 s[0:1], 0
	v_add_co_u32_e32 v2, vcc, v7, v5
	s_addc_u32 s7, s19, s7
	v_xor_b32_e32 v11, v2, v5
	v_mad_u64_u32 v[2:3], s[0:1], v11, s7, 0
	v_mul_hi_u32 v10, v11, s18
	v_addc_co_u32_e32 v9, vcc, v8, v5, vcc
	v_xor_b32_e32 v12, v9, v5
	v_add_co_u32_e32 v13, vcc, v10, v2
	v_addc_co_u32_e32 v14, vcc, 0, v3, vcc
	v_mad_u64_u32 v[2:3], s[0:1], v12, s18, 0
	v_mad_u64_u32 v[9:10], s[0:1], v12, s7, 0
	v_add_co_u32_e32 v2, vcc, v13, v2
	v_addc_co_u32_e32 v2, vcc, v14, v3, vcc
	v_addc_co_u32_e32 v3, vcc, 0, v10, vcc
	v_add_co_u32_e32 v9, vcc, v2, v9
	v_addc_co_u32_e32 v10, vcc, 0, v3, vcc
	v_mul_lo_u32 v13, s13, v9
	v_mul_lo_u32 v14, s12, v10
	v_mad_u64_u32 v[2:3], s[0:1], s12, v9, 0
	v_xor_b32_e32 v5, s6, v5
	v_add3_u32 v3, v3, v14, v13
	v_sub_u32_e32 v13, v12, v3
	v_mov_b32_e32 v14, s13
	v_sub_co_u32_e32 v2, vcc, v11, v2
	v_subb_co_u32_e64 v11, s[0:1], v13, v14, vcc
	v_subrev_co_u32_e64 v13, s[0:1], s12, v2
	v_subbrev_co_u32_e64 v11, s[0:1], 0, v11, s[0:1]
	v_cmp_le_u32_e64 s[0:1], s13, v11
	v_cndmask_b32_e64 v14, 0, -1, s[0:1]
	v_cmp_le_u32_e64 s[0:1], s12, v13
	v_cndmask_b32_e64 v13, 0, -1, s[0:1]
	v_cmp_eq_u32_e64 s[0:1], s13, v11
	v_cndmask_b32_e64 v11, v14, v13, s[0:1]
	v_add_co_u32_e64 v13, s[0:1], 2, v9
	v_subb_co_u32_e32 v3, vcc, v12, v3, vcc
	v_addc_co_u32_e64 v14, s[0:1], 0, v10, s[0:1]
	v_cmp_le_u32_e32 vcc, s13, v3
	v_add_co_u32_e64 v15, s[0:1], 1, v9
	v_cndmask_b32_e64 v12, 0, -1, vcc
	v_cmp_le_u32_e32 vcc, s12, v2
	v_addc_co_u32_e64 v16, s[0:1], 0, v10, s[0:1]
	v_cndmask_b32_e64 v2, 0, -1, vcc
	v_cmp_eq_u32_e32 vcc, s13, v3
	v_cmp_ne_u32_e64 s[0:1], 0, v11
	v_cndmask_b32_e32 v2, v12, v2, vcc
	v_cndmask_b32_e64 v11, v16, v14, s[0:1]
	v_cmp_ne_u32_e32 vcc, 0, v2
	v_cndmask_b32_e64 v3, v15, v13, s[0:1]
	v_cndmask_b32_e32 v2, v10, v11, vcc
	v_cndmask_b32_e32 v3, v9, v3, vcc
	v_xor_b32_e32 v9, v2, v5
	v_xor_b32_e32 v2, v3, v5
	v_sub_co_u32_e32 v2, vcc, v2, v5
	v_subb_co_u32_e32 v3, vcc, v9, v5, vcc
.LBB7_94:
	s_andn2_saveexec_b64 s[0:1], s[2:3]
	s_cbranch_execz .LBB7_96
; %bb.95:
	v_cvt_f32_u32_e32 v2, s16
	s_sub_i32 s2, 0, s16
	v_rcp_iflag_f32_e32 v2, v2
	v_mul_f32_e32 v2, 0x4f7ffffe, v2
	v_cvt_u32_f32_e32 v2, v2
	v_mul_lo_u32 v3, s2, v2
	v_mul_hi_u32 v3, v2, v3
	v_add_u32_e32 v2, v2, v3
	v_mul_hi_u32 v2, v7, v2
	v_mul_lo_u32 v3, v2, s16
	v_add_u32_e32 v5, 1, v2
	v_sub_u32_e32 v3, v7, v3
	v_subrev_u32_e32 v9, s16, v3
	v_cmp_le_u32_e32 vcc, s16, v3
	v_cndmask_b32_e32 v3, v3, v9, vcc
	v_cndmask_b32_e32 v2, v2, v5, vcc
	v_add_u32_e32 v5, 1, v2
	v_cmp_le_u32_e32 vcc, s16, v3
	v_cndmask_b32_e32 v2, v2, v5, vcc
	v_mov_b32_e32 v3, 0
.LBB7_96:
	s_or_b64 exec, exec, s[0:1]
	v_mul_lo_u32 v5, v1, s16
	v_mul_lo_u32 v11, v0, s17
	v_mad_u64_u32 v[9:10], s[0:1], v0, s16, 0
	v_add3_u32 v10, v10, v11, v5
	v_cmp_gt_i64_e32 vcc, v[9:10], v[7:8]
	v_mov_b32_e32 v5, s15
	v_add_co_u32_e64 v9, s[0:1], s14, v9
	v_addc_co_u32_e64 v10, s[0:1], v10, v5, s[0:1]
	v_cmp_ge_i64_e64 s[0:1], v[7:8], v[9:10]
	s_or_b64 s[0:1], vcc, s[0:1]
	v_cndmask_b32_e64 v5, 0, 1, s[0:1]
	v_add_co_u32_e32 v11, vcc, v0, v5
	v_addc_co_u32_e32 v12, vcc, 0, v1, vcc
	v_cmp_gt_i64_e32 vcc, s[4:5], v[2:3]
	v_mov_b32_e32 v0, s5
	v_cndmask_b32_e32 v10, v0, v3, vcc
	v_mov_b32_e32 v0, s4
	v_cndmask_b32_e32 v9, v0, v2, vcc
	v_cmp_le_i64_e32 vcc, v[11:12], v[9:10]
	s_and_b64 exec, exec, vcc
	s_cbranch_execz .LBB7_99
; %bb.97:
	global_load_dwordx4 v[0:3], v6, s[8:9]
	v_mul_lo_u32 v16, s17, v11
	v_mul_lo_u32 v17, s16, v12
	v_mad_u64_u32 v[13:14], s[0:1], s16, v11, 0
	v_mov_b32_e32 v15, s9
	v_add_co_u32_e32 v5, vcc, s8, v6
	v_addc_co_u32_e32 v6, vcc, 0, v15, vcc
	v_add3_u32 v14, v14, v17, v16
	v_sub_co_u32_e32 v7, vcc, v7, v13
	v_subb_co_u32_e32 v8, vcc, v8, v14, vcc
	v_mul_lo_u32 v17, s23, v7
	v_mul_lo_u32 v18, s22, v8
	v_mad_u64_u32 v[13:14], s[0:1], s22, v7, 0
	v_mul_lo_u32 v19, s21, v11
	v_mul_lo_u32 v20, s20, v12
	v_mad_u64_u32 v[15:16], s[0:1], s20, v11, 0
	v_add_co_u32_e32 v7, vcc, -1, v11
	v_add3_u32 v14, v14, v18, v17
	v_add3_u32 v16, v16, v20, v19
	v_addc_co_u32_e32 v8, vcc, -1, v12, vcc
	v_lshlrev_b64 v[11:12], 4, v[13:14]
	v_lshlrev_b64 v[13:14], 4, v[15:16]
	s_mul_i32 s2, s16, s23
	v_add_co_u32_e32 v11, vcc, v11, v13
	v_addc_co_u32_e32 v12, vcc, v12, v14, vcc
	v_add_co_u32_e32 v4, vcc, v11, v4
	s_mul_hi_u32 s3, s16, s22
	v_addc_co_u32_e32 v11, vcc, 0, v12, vcc
	s_add_i32 s2, s3, s2
	s_mul_i32 s3, s17, s22
	v_mov_b32_e32 v12, s11
	v_add_co_u32_e32 v4, vcc, s10, v4
	s_add_i32 s3, s2, s3
	s_mul_i32 s2, s16, s22
	v_addc_co_u32_e32 v12, vcc, v12, v11, vcc
	s_lshl_b64 s[0:1], s[20:21], 4
	s_lshl_b64 s[2:3], s[2:3], 4
	v_add_co_u32_e32 v11, vcc, 8, v4
	s_sub_u32 s4, s0, s2
	v_addc_co_u32_e32 v12, vcc, 0, v12, vcc
	s_subb_u32 s5, s1, s3
	s_mov_b64 s[2:3], 0
.LBB7_98:                               ; =>This Inner Loop Header: Depth=1
	global_load_dwordx4 v[13:16], v[11:12], off offset:-8
	v_add_co_u32_e32 v7, vcc, 1, v7
	v_addc_co_u32_e32 v8, vcc, 0, v8, vcc
	v_cmp_ge_i64_e64 s[0:1], v[7:8], v[9:10]
	v_mov_b32_e32 v4, s5
	v_add_co_u32_e32 v11, vcc, s4, v11
	v_addc_co_u32_e32 v12, vcc, v12, v4, vcc
	s_or_b64 s[2:3], s[0:1], s[2:3]
	s_waitcnt vmcnt(0)
	v_add_f64 v[0:1], v[0:1], v[13:14]
	v_add_f64 v[2:3], v[2:3], v[15:16]
	global_store_dwordx4 v[5:6], v[0:3], off
	s_andn2_b64 exec, exec, s[2:3]
	s_cbranch_execnz .LBB7_98
.LBB7_99:
	s_endpgm
	.section	.rodata,"a",@progbits
	.p2align	6, 0x0
	.amdhsa_kernel _ZN2at6native12_GLOBAL__N_135_unfold_backward_elementwise_kernelILi256ELi4EZNS1_32_unfold_backward_internal_kernelIN3c107complexIdEEEEvRNS_14TensorIteratorEllllllEUliE_EEviT1_
		.amdhsa_group_segment_fixed_size 0
		.amdhsa_private_segment_fixed_size 0
		.amdhsa_kernarg_size 464
		.amdhsa_user_sgpr_count 6
		.amdhsa_user_sgpr_private_segment_buffer 1
		.amdhsa_user_sgpr_dispatch_ptr 0
		.amdhsa_user_sgpr_queue_ptr 0
		.amdhsa_user_sgpr_kernarg_segment_ptr 1
		.amdhsa_user_sgpr_dispatch_id 0
		.amdhsa_user_sgpr_flat_scratch_init 0
		.amdhsa_user_sgpr_private_segment_size 0
		.amdhsa_uses_dynamic_stack 0
		.amdhsa_system_sgpr_private_segment_wavefront_offset 0
		.amdhsa_system_sgpr_workgroup_id_x 1
		.amdhsa_system_sgpr_workgroup_id_y 0
		.amdhsa_system_sgpr_workgroup_id_z 0
		.amdhsa_system_sgpr_workgroup_info 0
		.amdhsa_system_vgpr_workitem_id 0
		.amdhsa_next_free_vgpr 22
		.amdhsa_next_free_sgpr 58
		.amdhsa_reserve_vcc 1
		.amdhsa_reserve_flat_scratch 0
		.amdhsa_float_round_mode_32 0
		.amdhsa_float_round_mode_16_64 0
		.amdhsa_float_denorm_mode_32 3
		.amdhsa_float_denorm_mode_16_64 3
		.amdhsa_dx10_clamp 1
		.amdhsa_ieee_mode 1
		.amdhsa_fp16_overflow 0
		.amdhsa_exception_fp_ieee_invalid_op 0
		.amdhsa_exception_fp_denorm_src 0
		.amdhsa_exception_fp_ieee_div_zero 0
		.amdhsa_exception_fp_ieee_overflow 0
		.amdhsa_exception_fp_ieee_underflow 0
		.amdhsa_exception_fp_ieee_inexact 0
		.amdhsa_exception_int_div_zero 0
	.end_amdhsa_kernel
	.section	.text._ZN2at6native12_GLOBAL__N_135_unfold_backward_elementwise_kernelILi256ELi4EZNS1_32_unfold_backward_internal_kernelIN3c107complexIdEEEEvRNS_14TensorIteratorEllllllEUliE_EEviT1_,"axG",@progbits,_ZN2at6native12_GLOBAL__N_135_unfold_backward_elementwise_kernelILi256ELi4EZNS1_32_unfold_backward_internal_kernelIN3c107complexIdEEEEvRNS_14TensorIteratorEllllllEUliE_EEviT1_,comdat
.Lfunc_end7:
	.size	_ZN2at6native12_GLOBAL__N_135_unfold_backward_elementwise_kernelILi256ELi4EZNS1_32_unfold_backward_internal_kernelIN3c107complexIdEEEEvRNS_14TensorIteratorEllllllEUliE_EEviT1_, .Lfunc_end7-_ZN2at6native12_GLOBAL__N_135_unfold_backward_elementwise_kernelILi256ELi4EZNS1_32_unfold_backward_internal_kernelIN3c107complexIdEEEEvRNS_14TensorIteratorEllllllEUliE_EEviT1_
                                        ; -- End function
	.set _ZN2at6native12_GLOBAL__N_135_unfold_backward_elementwise_kernelILi256ELi4EZNS1_32_unfold_backward_internal_kernelIN3c107complexIdEEEEvRNS_14TensorIteratorEllllllEUliE_EEviT1_.num_vgpr, 22
	.set _ZN2at6native12_GLOBAL__N_135_unfold_backward_elementwise_kernelILi256ELi4EZNS1_32_unfold_backward_internal_kernelIN3c107complexIdEEEEvRNS_14TensorIteratorEllllllEUliE_EEviT1_.num_agpr, 0
	.set _ZN2at6native12_GLOBAL__N_135_unfold_backward_elementwise_kernelILi256ELi4EZNS1_32_unfold_backward_internal_kernelIN3c107complexIdEEEEvRNS_14TensorIteratorEllllllEUliE_EEviT1_.numbered_sgpr, 58
	.set _ZN2at6native12_GLOBAL__N_135_unfold_backward_elementwise_kernelILi256ELi4EZNS1_32_unfold_backward_internal_kernelIN3c107complexIdEEEEvRNS_14TensorIteratorEllllllEUliE_EEviT1_.num_named_barrier, 0
	.set _ZN2at6native12_GLOBAL__N_135_unfold_backward_elementwise_kernelILi256ELi4EZNS1_32_unfold_backward_internal_kernelIN3c107complexIdEEEEvRNS_14TensorIteratorEllllllEUliE_EEviT1_.private_seg_size, 0
	.set _ZN2at6native12_GLOBAL__N_135_unfold_backward_elementwise_kernelILi256ELi4EZNS1_32_unfold_backward_internal_kernelIN3c107complexIdEEEEvRNS_14TensorIteratorEllllllEUliE_EEviT1_.uses_vcc, 1
	.set _ZN2at6native12_GLOBAL__N_135_unfold_backward_elementwise_kernelILi256ELi4EZNS1_32_unfold_backward_internal_kernelIN3c107complexIdEEEEvRNS_14TensorIteratorEllllllEUliE_EEviT1_.uses_flat_scratch, 0
	.set _ZN2at6native12_GLOBAL__N_135_unfold_backward_elementwise_kernelILi256ELi4EZNS1_32_unfold_backward_internal_kernelIN3c107complexIdEEEEvRNS_14TensorIteratorEllllllEUliE_EEviT1_.has_dyn_sized_stack, 0
	.set _ZN2at6native12_GLOBAL__N_135_unfold_backward_elementwise_kernelILi256ELi4EZNS1_32_unfold_backward_internal_kernelIN3c107complexIdEEEEvRNS_14TensorIteratorEllllllEUliE_EEviT1_.has_recursion, 0
	.set _ZN2at6native12_GLOBAL__N_135_unfold_backward_elementwise_kernelILi256ELi4EZNS1_32_unfold_backward_internal_kernelIN3c107complexIdEEEEvRNS_14TensorIteratorEllllllEUliE_EEviT1_.has_indirect_call, 0
	.section	.AMDGPU.csdata,"",@progbits
; Kernel info:
; codeLenInByte = 10040
; TotalNumSgprs: 62
; NumVgprs: 22
; ScratchSize: 0
; MemoryBound: 0
; FloatMode: 240
; IeeeMode: 1
; LDSByteSize: 0 bytes/workgroup (compile time only)
; SGPRBlocks: 7
; VGPRBlocks: 5
; NumSGPRsForWavesPerEU: 62
; NumVGPRsForWavesPerEU: 22
; Occupancy: 10
; WaveLimiterHint : 1
; COMPUTE_PGM_RSRC2:SCRATCH_EN: 0
; COMPUTE_PGM_RSRC2:USER_SGPR: 6
; COMPUTE_PGM_RSRC2:TRAP_HANDLER: 0
; COMPUTE_PGM_RSRC2:TGID_X_EN: 1
; COMPUTE_PGM_RSRC2:TGID_Y_EN: 0
; COMPUTE_PGM_RSRC2:TGID_Z_EN: 0
; COMPUTE_PGM_RSRC2:TIDIG_COMP_CNT: 0
	.section	.text._ZN2at6native12_GLOBAL__N_135_unfold_backward_elementwise_kernelILi256ELi4EZNS1_32_unfold_backward_internal_kernelIN3c107complexIfEEEEvRNS_14TensorIteratorEllllllEUliE_EEviT1_,"axG",@progbits,_ZN2at6native12_GLOBAL__N_135_unfold_backward_elementwise_kernelILi256ELi4EZNS1_32_unfold_backward_internal_kernelIN3c107complexIfEEEEvRNS_14TensorIteratorEllllllEUliE_EEviT1_,comdat
	.globl	_ZN2at6native12_GLOBAL__N_135_unfold_backward_elementwise_kernelILi256ELi4EZNS1_32_unfold_backward_internal_kernelIN3c107complexIfEEEEvRNS_14TensorIteratorEllllllEUliE_EEviT1_ ; -- Begin function _ZN2at6native12_GLOBAL__N_135_unfold_backward_elementwise_kernelILi256ELi4EZNS1_32_unfold_backward_internal_kernelIN3c107complexIfEEEEvRNS_14TensorIteratorEllllllEUliE_EEviT1_
	.p2align	8
	.type	_ZN2at6native12_GLOBAL__N_135_unfold_backward_elementwise_kernelILi256ELi4EZNS1_32_unfold_backward_internal_kernelIN3c107complexIfEEEEvRNS_14TensorIteratorEllllllEUliE_EEviT1_,@function
_ZN2at6native12_GLOBAL__N_135_unfold_backward_elementwise_kernelILi256ELi4EZNS1_32_unfold_backward_internal_kernelIN3c107complexIfEEEEvRNS_14TensorIteratorEllllllEUliE_EEviT1_: ; @_ZN2at6native12_GLOBAL__N_135_unfold_backward_elementwise_kernelILi256ELi4EZNS1_32_unfold_backward_internal_kernelIN3c107complexIfEEEEvRNS_14TensorIteratorEllllllEUliE_EEviT1_
; %bb.0:
	s_load_dword s51, s[4:5], 0x0
	s_load_dwordx8 s[24:31], s[4:5], 0x8
	s_add_u32 s33, s4, 8
	v_lshl_or_b32 v11, s6, 10, v0
	s_addc_u32 s50, s5, 0
	s_load_dwordx16 s[8:23], s[4:5], 0x190
	s_load_dwordx4 s[36:39], s[4:5], 0xcc
	s_load_dwordx2 s[6:7], s[4:5], 0xdc
	s_waitcnt lgkmcnt(0)
	v_sub_co_u32_e64 v0, s[0:1], s24, 1
	s_xor_b64 s[40:41], s[0:1], -1
	v_readfirstlane_b32 s0, v0
	s_min_u32 s31, s0, 15
	s_cmp_gt_u32 s24, 1
	v_cmp_lt_u32_e64 s[0:1], 1, v0
	s_cselect_b64 s[34:35], -1, 0
	s_add_u32 s4, s18, -1
	v_cndmask_b32_e64 v0, 0, 1, s[0:1]
	s_mov_b64 s[2:3], -1
	s_addc_u32 s5, s19, -1
	v_cmp_gt_i32_e32 vcc, s51, v11
	v_cmp_ne_u32_e64 s[0:1], 1, v0
	s_and_saveexec_b64 s[18:19], vcc
	s_cbranch_execnz .LBB8_4
; %bb.1:
	s_or_b64 exec, exec, s[18:19]
	v_cmp_gt_i32_e32 vcc, s51, v11
	s_and_saveexec_b64 s[18:19], vcc
	s_cbranch_execnz .LBB8_28
.LBB8_2:
	s_or_b64 exec, exec, s[18:19]
	v_cmp_gt_i32_e32 vcc, s51, v11
	s_and_saveexec_b64 s[18:19], vcc
	s_cbranch_execnz .LBB8_52
.LBB8_3:
	s_or_b64 exec, exec, s[18:19]
	v_cmp_gt_i32_e32 vcc, s51, v11
	s_and_saveexec_b64 s[2:3], vcc
	s_cbranch_execnz .LBB8_76
	s_branch .LBB8_99
.LBB8_4:
	s_and_b64 vcc, exec, s[0:1]
                                        ; implicit-def: $vgpr2
                                        ; implicit-def: $vgpr0
                                        ; implicit-def: $vgpr4
	s_cbranch_vccnz .LBB8_11
; %bb.5:
	v_mov_b32_e32 v2, 0
	s_andn2_b64 vcc, exec, s[40:41]
	v_mov_b32_e32 v0, 0
	v_mov_b32_e32 v4, 0
	s_cbranch_vccnz .LBB8_10
; %bb.6:
	s_add_i32 s2, s31, 1
	s_and_b32 s24, s2, 30
	s_add_u32 s2, s33, 0xffffffe8
	s_addc_u32 s3, s50, -1
	v_mov_b32_e32 v4, 0
	v_mov_b32_e32 v0, 0
	;; [unrolled: 1-line block ×4, first 2 shown]
.LBB8_7:                                ; =>This Inner Loop Header: Depth=1
	s_load_dwordx4 s[44:47], s[2:3], 0x1c
	s_load_dwordx2 s[42:43], s[2:3], 0x2c
	s_load_dwordx2 s[48:49], s[2:3], 0xec
	s_load_dwordx4 s[52:55], s[2:3], 0xdc
	s_add_u32 s2, s2, 24
	s_waitcnt lgkmcnt(0)
	v_mul_hi_u32 v3, s45, v1
	s_addc_u32 s3, s3, 0
	s_add_i32 s24, s24, -2
	s_cmp_lg_u32 s24, 0
	v_add_u32_e32 v3, v1, v3
	v_lshrrev_b32_e32 v3, s46, v3
	v_mul_lo_u32 v5, v3, s44
	v_mul_hi_u32 v6, s42, v3
	v_sub_u32_e32 v5, v1, v5
	v_add_u32_e32 v1, v3, v6
	v_lshrrev_b32_e32 v1, s43, v1
	v_mul_lo_u32 v8, v1, s47
	v_mul_lo_u32 v6, v5, s52
	;; [unrolled: 1-line block ×4, first 2 shown]
	v_sub_u32_e32 v3, v3, v8
	v_mul_lo_u32 v8, v3, s55
	v_mul_lo_u32 v9, v3, s48
	;; [unrolled: 1-line block ×3, first 2 shown]
	v_add3_u32 v2, v6, v2, v8
	v_add3_u32 v0, v7, v0, v9
	;; [unrolled: 1-line block ×3, first 2 shown]
	s_cbranch_scc1 .LBB8_7
; %bb.8:
	s_bitcmp1_b32 s31, 0
	s_cselect_b64 s[42:43], -1, 0
	s_and_b64 vcc, exec, s[42:43]
	s_cbranch_vccnz .LBB8_10
; %bb.9:
	s_load_dwordx2 s[42:43], s[2:3], 0x1c
	s_load_dword s24, s[2:3], 0x24
	s_load_dwordx2 s[44:45], s[2:3], 0xdc
	s_waitcnt lgkmcnt(0)
	v_mul_hi_u32 v3, s43, v1
	v_add_u32_e32 v3, v1, v3
	v_lshrrev_b32_e32 v3, s24, v3
	v_mul_lo_u32 v3, v3, s42
	s_load_dword s24, s[2:3], 0xe4
	v_sub_u32_e32 v5, v1, v3
	v_mad_u64_u32 v[2:3], s[2:3], v5, s44, v[2:3]
	v_mad_u64_u32 v[0:1], s[2:3], v5, s45, v[0:1]
	s_waitcnt lgkmcnt(0)
	v_mad_u64_u32 v[4:5], s[2:3], v5, s24, v[4:5]
.LBB8_10:
	s_mov_b64 s[2:3], 0
.LBB8_11:
	s_andn2_b64 vcc, exec, s[2:3]
	s_cbranch_vccnz .LBB8_14
; %bb.12:
	v_mul_hi_u32 v0, s26, v11
	s_andn2_b64 vcc, exec, s[34:35]
	v_add_u32_e32 v0, v11, v0
	v_lshrrev_b32_e32 v1, s27, v0
	v_mul_lo_u32 v0, v1, s25
	v_sub_u32_e32 v3, v11, v0
	v_mul_lo_u32 v2, v3, s36
	v_mul_lo_u32 v0, v3, s37
	;; [unrolled: 1-line block ×3, first 2 shown]
	s_cbranch_vccnz .LBB8_14
; %bb.13:
	v_mul_hi_u32 v3, s29, v1
	v_add_u32_e32 v3, v1, v3
	v_lshrrev_b32_e32 v3, s30, v3
	v_mul_lo_u32 v3, v3, s28
	v_sub_u32_e32 v5, v1, v3
	v_mad_u64_u32 v[2:3], s[2:3], v5, s39, v[2:3]
	v_mad_u64_u32 v[0:1], s[2:3], v5, s6, v[0:1]
	v_mad_u64_u32 v[4:5], s[2:3], v5, s7, v[4:5]
.LBB8_14:
	global_load_dwordx2 v[3:4], v4, s[12:13]
	v_mov_b32_e32 v5, 0
	v_mov_b32_e32 v6, 0
	s_waitcnt vmcnt(0)
	v_cmp_lt_i64_e32 vcc, s[14:15], v[3:4]
	s_and_saveexec_b64 s[42:43], vcc
	s_cbranch_execz .LBB8_20
; %bb.15:
	v_mov_b32_e32 v5, s15
	v_subrev_co_u32_e32 v1, vcc, s14, v3
	v_subb_co_u32_e32 v7, vcc, v4, v5, vcc
	v_or_b32_e32 v6, s17, v7
	v_mov_b32_e32 v5, 0
	v_cmp_ne_u64_e32 vcc, 0, v[5:6]
                                        ; implicit-def: $vgpr5_vgpr6
	s_and_saveexec_b64 s[2:3], vcc
	s_xor_b64 s[44:45], exec, s[2:3]
	s_cbranch_execz .LBB8_17
; %bb.16:
	s_ashr_i32 s46, s17, 31
	s_add_u32 s2, s16, s46
	s_mov_b32 s47, s46
	s_addc_u32 s3, s17, s46
	s_xor_b64 s[48:49], s[2:3], s[46:47]
	v_cvt_f32_u32_e32 v5, s48
	v_cvt_f32_u32_e32 v6, s49
	s_sub_u32 s24, 0, s48
	s_subb_u32 s47, 0, s49
	v_ashrrev_i32_e32 v9, 31, v7
	v_madmk_f32 v5, v6, 0x4f800000, v5
	v_rcp_f32_e32 v5, v5
	v_add_co_u32_e32 v1, vcc, v1, v9
	v_xor_b32_e32 v1, v1, v9
	v_mul_f32_e32 v5, 0x5f7ffffc, v5
	v_mul_f32_e32 v6, 0x2f800000, v5
	v_trunc_f32_e32 v6, v6
	v_madmk_f32 v5, v6, 0xcf800000, v5
	v_cvt_u32_f32_e32 v6, v6
	v_cvt_u32_f32_e32 v5, v5
	v_addc_co_u32_e32 v7, vcc, v7, v9, vcc
	v_readfirstlane_b32 s52, v6
	v_readfirstlane_b32 s2, v5
	s_mul_i32 s3, s24, s52
	s_mul_hi_u32 s54, s24, s2
	s_mul_i32 s53, s47, s2
	s_add_i32 s3, s54, s3
	s_add_i32 s3, s3, s53
	s_mul_i32 s55, s24, s2
	s_mul_i32 s54, s2, s3
	s_mul_hi_u32 s56, s2, s55
	s_mul_hi_u32 s53, s2, s3
	s_add_u32 s54, s56, s54
	s_addc_u32 s53, 0, s53
	s_mul_hi_u32 s57, s52, s55
	s_mul_i32 s55, s52, s55
	s_add_u32 s54, s54, s55
	s_mul_hi_u32 s56, s52, s3
	s_addc_u32 s53, s53, s57
	s_addc_u32 s54, s56, 0
	s_mul_i32 s3, s52, s3
	s_add_u32 s3, s53, s3
	s_addc_u32 s53, 0, s54
	s_add_u32 s54, s2, s3
	s_cselect_b64 s[2:3], -1, 0
	s_cmp_lg_u64 s[2:3], 0
	s_addc_u32 s52, s52, s53
	s_mul_i32 s2, s24, s52
	s_mul_hi_u32 s3, s24, s54
	s_add_i32 s2, s3, s2
	s_mul_i32 s47, s47, s54
	s_add_i32 s2, s2, s47
	s_mul_i32 s24, s24, s54
	s_mul_hi_u32 s47, s52, s24
	s_mul_i32 s53, s52, s24
	s_mul_i32 s56, s54, s2
	s_mul_hi_u32 s24, s54, s24
	s_mul_hi_u32 s55, s54, s2
	s_add_u32 s24, s24, s56
	s_addc_u32 s55, 0, s55
	s_add_u32 s24, s24, s53
	s_mul_hi_u32 s3, s52, s2
	s_addc_u32 s24, s55, s47
	s_addc_u32 s3, s3, 0
	s_mul_i32 s2, s52, s2
	s_add_u32 s2, s24, s2
	s_addc_u32 s24, 0, s3
	s_add_u32 s47, s54, s2
	s_cselect_b64 s[2:3], -1, 0
	s_cmp_lg_u64 s[2:3], 0
	s_addc_u32 s24, s52, s24
	v_mad_u64_u32 v[5:6], s[2:3], v1, s24, 0
	v_mul_hi_u32 v8, v1, s47
	v_xor_b32_e32 v10, v7, v9
	v_add_co_u32_e32 v12, vcc, v8, v5
	v_addc_co_u32_e32 v13, vcc, 0, v6, vcc
	v_mad_u64_u32 v[5:6], s[2:3], v10, s47, 0
	v_mad_u64_u32 v[7:8], s[2:3], v10, s24, 0
	v_add_co_u32_e32 v5, vcc, v12, v5
	v_addc_co_u32_e32 v5, vcc, v13, v6, vcc
	v_addc_co_u32_e32 v6, vcc, 0, v8, vcc
	v_add_co_u32_e32 v7, vcc, v5, v7
	v_addc_co_u32_e32 v8, vcc, 0, v6, vcc
	v_mul_lo_u32 v12, s49, v7
	v_mul_lo_u32 v13, s48, v8
	v_mad_u64_u32 v[5:6], s[2:3], s48, v7, 0
	v_add3_u32 v6, v6, v13, v12
	v_sub_u32_e32 v12, v10, v6
	v_mov_b32_e32 v13, s49
	v_sub_co_u32_e32 v1, vcc, v1, v5
	v_subb_co_u32_e64 v5, s[2:3], v12, v13, vcc
	v_subrev_co_u32_e64 v12, s[2:3], s48, v1
	v_subbrev_co_u32_e64 v5, s[2:3], 0, v5, s[2:3]
	v_cmp_le_u32_e64 s[2:3], s49, v5
	v_cndmask_b32_e64 v13, 0, -1, s[2:3]
	v_cmp_le_u32_e64 s[2:3], s48, v12
	v_cndmask_b32_e64 v12, 0, -1, s[2:3]
	v_cmp_eq_u32_e64 s[2:3], s49, v5
	v_cndmask_b32_e64 v5, v13, v12, s[2:3]
	v_add_co_u32_e64 v12, s[2:3], 2, v7
	v_subb_co_u32_e32 v6, vcc, v10, v6, vcc
	v_addc_co_u32_e64 v13, s[2:3], 0, v8, s[2:3]
	v_cmp_le_u32_e32 vcc, s49, v6
	v_add_co_u32_e64 v14, s[2:3], 1, v7
	v_cndmask_b32_e64 v10, 0, -1, vcc
	v_cmp_le_u32_e32 vcc, s48, v1
	v_addc_co_u32_e64 v15, s[2:3], 0, v8, s[2:3]
	v_cndmask_b32_e64 v1, 0, -1, vcc
	v_cmp_eq_u32_e32 vcc, s49, v6
	v_cmp_ne_u32_e64 s[2:3], 0, v5
	v_cndmask_b32_e32 v1, v10, v1, vcc
	v_cndmask_b32_e64 v5, v15, v13, s[2:3]
	v_cmp_ne_u32_e32 vcc, 0, v1
	v_cndmask_b32_e32 v1, v8, v5, vcc
	v_cndmask_b32_e64 v5, v14, v12, s[2:3]
	v_cndmask_b32_e32 v5, v7, v5, vcc
	v_xor_b32_e32 v6, s46, v9
	v_xor_b32_e32 v5, v5, v6
	;; [unrolled: 1-line block ×3, first 2 shown]
	v_sub_co_u32_e32 v5, vcc, v5, v6
	v_subb_co_u32_e32 v6, vcc, v1, v6, vcc
                                        ; implicit-def: $vgpr1
.LBB8_17:
	s_andn2_saveexec_b64 s[2:3], s[44:45]
	s_cbranch_execz .LBB8_19
; %bb.18:
	v_cvt_f32_u32_e32 v5, s16
	s_sub_i32 s24, 0, s16
	v_rcp_iflag_f32_e32 v5, v5
	v_mul_f32_e32 v5, 0x4f7ffffe, v5
	v_cvt_u32_f32_e32 v5, v5
	v_mul_lo_u32 v6, s24, v5
	v_mul_hi_u32 v6, v5, v6
	v_add_u32_e32 v5, v5, v6
	v_mul_hi_u32 v5, v1, v5
	v_mul_lo_u32 v6, v5, s16
	v_add_u32_e32 v7, 1, v5
	v_sub_u32_e32 v1, v1, v6
	v_subrev_u32_e32 v6, s16, v1
	v_cmp_le_u32_e32 vcc, s16, v1
	v_cndmask_b32_e32 v1, v1, v6, vcc
	v_cndmask_b32_e32 v5, v5, v7, vcc
	v_add_u32_e32 v6, 1, v5
	v_cmp_le_u32_e32 vcc, s16, v1
	v_cndmask_b32_e32 v5, v5, v6, vcc
	v_mov_b32_e32 v6, 0
.LBB8_19:
	s_or_b64 exec, exec, s[2:3]
.LBB8_20:
	s_or_b64 exec, exec, s[42:43]
	v_or_b32_e32 v8, s17, v4
	v_mov_b32_e32 v7, 0
	v_cmp_ne_u64_e32 vcc, 0, v[7:8]
                                        ; implicit-def: $vgpr7_vgpr8
	s_and_saveexec_b64 s[2:3], vcc
	s_xor_b64 s[42:43], exec, s[2:3]
	s_cbranch_execz .LBB8_22
; %bb.21:
	s_ashr_i32 s44, s17, 31
	s_add_u32 s2, s16, s44
	s_mov_b32 s45, s44
	s_addc_u32 s3, s17, s44
	s_xor_b64 s[46:47], s[2:3], s[44:45]
	v_cvt_f32_u32_e32 v1, s46
	v_cvt_f32_u32_e32 v7, s47
	s_sub_u32 s24, 0, s46
	s_subb_u32 s45, 0, s47
	v_madmk_f32 v1, v7, 0x4f800000, v1
	v_rcp_f32_e32 v1, v1
	v_mul_f32_e32 v1, 0x5f7ffffc, v1
	v_mul_f32_e32 v7, 0x2f800000, v1
	v_trunc_f32_e32 v7, v7
	v_madmk_f32 v1, v7, 0xcf800000, v1
	v_cvt_u32_f32_e32 v7, v7
	v_cvt_u32_f32_e32 v1, v1
	v_readfirstlane_b32 s48, v7
	v_readfirstlane_b32 s2, v1
	s_mul_i32 s3, s24, s48
	s_mul_hi_u32 s52, s24, s2
	s_mul_i32 s49, s45, s2
	s_add_i32 s3, s52, s3
	s_add_i32 s3, s3, s49
	s_mul_i32 s53, s24, s2
	s_mul_i32 s52, s2, s3
	s_mul_hi_u32 s54, s2, s53
	s_mul_hi_u32 s49, s2, s3
	s_add_u32 s52, s54, s52
	s_addc_u32 s49, 0, s49
	s_mul_hi_u32 s55, s48, s53
	s_mul_i32 s53, s48, s53
	s_add_u32 s52, s52, s53
	s_mul_hi_u32 s54, s48, s3
	s_addc_u32 s49, s49, s55
	s_addc_u32 s52, s54, 0
	s_mul_i32 s3, s48, s3
	s_add_u32 s3, s49, s3
	s_addc_u32 s49, 0, s52
	s_add_u32 s52, s2, s3
	s_cselect_b64 s[2:3], -1, 0
	s_cmp_lg_u64 s[2:3], 0
	s_addc_u32 s48, s48, s49
	s_mul_i32 s2, s24, s48
	s_mul_hi_u32 s3, s24, s52
	s_add_i32 s2, s3, s2
	s_mul_i32 s45, s45, s52
	s_add_i32 s2, s2, s45
	s_mul_i32 s24, s24, s52
	s_mul_hi_u32 s45, s48, s24
	s_mul_i32 s49, s48, s24
	s_mul_i32 s54, s52, s2
	s_mul_hi_u32 s24, s52, s24
	s_mul_hi_u32 s53, s52, s2
	s_add_u32 s24, s24, s54
	s_addc_u32 s53, 0, s53
	s_add_u32 s24, s24, s49
	s_mul_hi_u32 s3, s48, s2
	s_addc_u32 s24, s53, s45
	s_addc_u32 s3, s3, 0
	s_mul_i32 s2, s48, s2
	s_add_u32 s2, s24, s2
	s_addc_u32 s24, 0, s3
	s_add_u32 s45, s52, s2
	s_cselect_b64 s[2:3], -1, 0
	v_ashrrev_i32_e32 v1, 31, v4
	s_cmp_lg_u64 s[2:3], 0
	v_add_co_u32_e32 v7, vcc, v3, v1
	s_addc_u32 s24, s48, s24
	v_xor_b32_e32 v12, v7, v1
	v_mad_u64_u32 v[7:8], s[2:3], v12, s24, 0
	v_mul_hi_u32 v10, v12, s45
	v_addc_co_u32_e32 v9, vcc, v4, v1, vcc
	v_xor_b32_e32 v13, v9, v1
	v_add_co_u32_e32 v14, vcc, v10, v7
	v_addc_co_u32_e32 v15, vcc, 0, v8, vcc
	v_mad_u64_u32 v[7:8], s[2:3], v13, s45, 0
	v_mad_u64_u32 v[9:10], s[2:3], v13, s24, 0
	v_add_co_u32_e32 v7, vcc, v14, v7
	v_addc_co_u32_e32 v7, vcc, v15, v8, vcc
	v_addc_co_u32_e32 v8, vcc, 0, v10, vcc
	v_add_co_u32_e32 v9, vcc, v7, v9
	v_addc_co_u32_e32 v10, vcc, 0, v8, vcc
	v_mul_lo_u32 v14, s47, v9
	v_mul_lo_u32 v15, s46, v10
	v_mad_u64_u32 v[7:8], s[2:3], s46, v9, 0
	v_xor_b32_e32 v1, s44, v1
	v_add3_u32 v8, v8, v15, v14
	v_sub_u32_e32 v14, v13, v8
	v_mov_b32_e32 v15, s47
	v_sub_co_u32_e32 v7, vcc, v12, v7
	v_subb_co_u32_e64 v12, s[2:3], v14, v15, vcc
	v_subrev_co_u32_e64 v14, s[2:3], s46, v7
	v_subbrev_co_u32_e64 v12, s[2:3], 0, v12, s[2:3]
	v_cmp_le_u32_e64 s[2:3], s47, v12
	v_cndmask_b32_e64 v15, 0, -1, s[2:3]
	v_cmp_le_u32_e64 s[2:3], s46, v14
	v_cndmask_b32_e64 v14, 0, -1, s[2:3]
	v_cmp_eq_u32_e64 s[2:3], s47, v12
	v_cndmask_b32_e64 v12, v15, v14, s[2:3]
	v_add_co_u32_e64 v14, s[2:3], 2, v9
	v_subb_co_u32_e32 v8, vcc, v13, v8, vcc
	v_addc_co_u32_e64 v15, s[2:3], 0, v10, s[2:3]
	v_cmp_le_u32_e32 vcc, s47, v8
	v_add_co_u32_e64 v16, s[2:3], 1, v9
	v_cndmask_b32_e64 v13, 0, -1, vcc
	v_cmp_le_u32_e32 vcc, s46, v7
	v_addc_co_u32_e64 v17, s[2:3], 0, v10, s[2:3]
	v_cndmask_b32_e64 v7, 0, -1, vcc
	v_cmp_eq_u32_e32 vcc, s47, v8
	v_cmp_ne_u32_e64 s[2:3], 0, v12
	v_cndmask_b32_e32 v7, v13, v7, vcc
	v_cndmask_b32_e64 v12, v17, v15, s[2:3]
	v_cmp_ne_u32_e32 vcc, 0, v7
	v_cndmask_b32_e64 v8, v16, v14, s[2:3]
	v_cndmask_b32_e32 v7, v10, v12, vcc
	v_cndmask_b32_e32 v8, v9, v8, vcc
	v_xor_b32_e32 v9, v7, v1
	v_xor_b32_e32 v7, v8, v1
	v_sub_co_u32_e32 v7, vcc, v7, v1
	v_subb_co_u32_e32 v8, vcc, v9, v1, vcc
.LBB8_22:
	s_andn2_saveexec_b64 s[2:3], s[42:43]
	s_cbranch_execz .LBB8_24
; %bb.23:
	v_cvt_f32_u32_e32 v1, s16
	s_sub_i32 s24, 0, s16
	v_rcp_iflag_f32_e32 v1, v1
	v_mul_f32_e32 v1, 0x4f7ffffe, v1
	v_cvt_u32_f32_e32 v1, v1
	v_mul_lo_u32 v7, s24, v1
	v_mul_hi_u32 v7, v1, v7
	v_add_u32_e32 v1, v1, v7
	v_mul_hi_u32 v1, v3, v1
	v_mul_lo_u32 v7, v1, s16
	v_add_u32_e32 v8, 1, v1
	v_sub_u32_e32 v7, v3, v7
	v_subrev_u32_e32 v9, s16, v7
	v_cmp_le_u32_e32 vcc, s16, v7
	v_cndmask_b32_e32 v7, v7, v9, vcc
	v_cndmask_b32_e32 v1, v1, v8, vcc
	v_add_u32_e32 v8, 1, v1
	v_cmp_le_u32_e32 vcc, s16, v7
	v_cndmask_b32_e32 v7, v1, v8, vcc
	v_mov_b32_e32 v8, 0
.LBB8_24:
	s_or_b64 exec, exec, s[2:3]
	v_mul_lo_u32 v1, v6, s16
	v_mul_lo_u32 v12, v5, s17
	v_mad_u64_u32 v[9:10], s[2:3], v5, s16, 0
	v_add3_u32 v10, v10, v12, v1
	v_cmp_gt_i64_e32 vcc, v[9:10], v[3:4]
	v_mov_b32_e32 v1, s15
	v_add_co_u32_e64 v9, s[2:3], s14, v9
	v_addc_co_u32_e64 v10, s[2:3], v10, v1, s[2:3]
	v_cmp_ge_i64_e64 s[2:3], v[3:4], v[9:10]
	s_or_b64 s[2:3], vcc, s[2:3]
	v_cndmask_b32_e64 v1, 0, 1, s[2:3]
	v_add_co_u32_e32 v9, vcc, v5, v1
	v_addc_co_u32_e32 v10, vcc, 0, v6, vcc
	v_cmp_gt_i64_e32 vcc, s[4:5], v[7:8]
	v_mov_b32_e32 v1, s5
	v_cndmask_b32_e32 v6, v1, v8, vcc
	v_mov_b32_e32 v1, s4
	v_cndmask_b32_e32 v5, v1, v7, vcc
	v_cmp_le_i64_e32 vcc, v[9:10], v[5:6]
	s_and_saveexec_b64 s[42:43], vcc
	s_cbranch_execz .LBB8_27
; %bb.25:
	global_load_dwordx2 v[7:8], v2, s[8:9]
	v_mul_lo_u32 v15, s17, v9
	v_mul_lo_u32 v16, s16, v10
	v_mad_u64_u32 v[12:13], s[2:3], s16, v9, 0
	v_mov_b32_e32 v14, s9
	v_add_co_u32_e32 v1, vcc, s8, v2
	v_addc_co_u32_e32 v2, vcc, 0, v14, vcc
	v_add3_u32 v13, v13, v16, v15
	v_sub_co_u32_e32 v3, vcc, v3, v12
	v_subb_co_u32_e32 v4, vcc, v4, v13, vcc
	v_mul_lo_u32 v16, s23, v3
	v_mul_lo_u32 v17, s22, v4
	v_mad_u64_u32 v[12:13], s[2:3], s22, v3, 0
	v_mul_lo_u32 v18, s21, v9
	v_mul_lo_u32 v19, s20, v10
	v_mad_u64_u32 v[14:15], s[2:3], s20, v9, 0
	v_add_co_u32_e32 v3, vcc, -1, v9
	v_add3_u32 v13, v13, v17, v16
	v_add3_u32 v15, v15, v19, v18
	v_addc_co_u32_e32 v4, vcc, -1, v10, vcc
	v_lshlrev_b64 v[9:10], 3, v[12:13]
	v_lshlrev_b64 v[12:13], 3, v[14:15]
	s_mul_i32 s24, s16, s23
	v_add_co_u32_e32 v9, vcc, v9, v12
	v_addc_co_u32_e32 v10, vcc, v10, v13, vcc
	v_add_co_u32_e32 v0, vcc, v9, v0
	s_mul_hi_u32 s44, s16, s22
	v_addc_co_u32_e32 v9, vcc, 0, v10, vcc
	s_add_i32 s24, s44, s24
	s_mul_i32 s44, s17, s22
	v_mov_b32_e32 v10, s11
	v_add_co_u32_e32 v0, vcc, s10, v0
	s_add_i32 s45, s24, s44
	s_mul_i32 s44, s16, s22
	v_addc_co_u32_e32 v10, vcc, v10, v9, vcc
	s_lshl_b64 s[2:3], s[20:21], 3
	s_lshl_b64 s[44:45], s[44:45], 3
	v_add_co_u32_e32 v9, vcc, 4, v0
	s_sub_u32 s24, s2, s44
	v_addc_co_u32_e32 v10, vcc, 0, v10, vcc
	s_subb_u32 s46, s3, s45
	s_mov_b64 s[44:45], 0
.LBB8_26:                               ; =>This Inner Loop Header: Depth=1
	global_load_dwordx2 v[12:13], v[9:10], off offset:-4
	v_add_co_u32_e32 v3, vcc, 1, v3
	v_addc_co_u32_e32 v4, vcc, 0, v4, vcc
	v_cmp_ge_i64_e64 s[2:3], v[3:4], v[5:6]
	v_mov_b32_e32 v0, s46
	v_add_co_u32_e32 v9, vcc, s24, v9
	v_addc_co_u32_e32 v10, vcc, v10, v0, vcc
	s_or_b64 s[44:45], s[2:3], s[44:45]
	s_waitcnt vmcnt(0)
	v_add_f32_e32 v7, v7, v12
	v_add_f32_e32 v8, v8, v13
	global_store_dwordx2 v[1:2], v[7:8], off
	s_andn2_b64 exec, exec, s[44:45]
	s_cbranch_execnz .LBB8_26
.LBB8_27:
	s_or_b64 exec, exec, s[42:43]
	v_add_u32_e32 v11, 0x100, v11
	s_or_b64 exec, exec, s[18:19]
	v_cmp_gt_i32_e32 vcc, s51, v11
	s_and_saveexec_b64 s[18:19], vcc
	s_cbranch_execz .LBB8_2
.LBB8_28:
	s_and_b64 vcc, exec, s[0:1]
	s_cbranch_vccnz .LBB8_35
; %bb.29:
	v_mov_b32_e32 v2, 0
	s_andn2_b64 vcc, exec, s[40:41]
	v_mov_b32_e32 v0, 0
	v_mov_b32_e32 v4, 0
	s_cbranch_vccnz .LBB8_34
; %bb.30:
	s_add_i32 s2, s31, 1
	s_and_b32 s24, s2, 30
	s_add_u32 s2, s33, 0xffffffe8
	s_addc_u32 s3, s50, -1
	v_mov_b32_e32 v4, 0
	v_mov_b32_e32 v0, 0
	;; [unrolled: 1-line block ×4, first 2 shown]
.LBB8_31:                               ; =>This Inner Loop Header: Depth=1
	s_load_dwordx4 s[44:47], s[2:3], 0x1c
	s_load_dwordx2 s[42:43], s[2:3], 0x2c
	s_load_dwordx2 s[48:49], s[2:3], 0xec
	s_load_dwordx4 s[52:55], s[2:3], 0xdc
	s_add_u32 s2, s2, 24
	s_waitcnt lgkmcnt(0)
	v_mul_hi_u32 v3, s45, v1
	s_addc_u32 s3, s3, 0
	s_add_i32 s24, s24, -2
	s_cmp_eq_u32 s24, 0
	v_add_u32_e32 v3, v1, v3
	v_lshrrev_b32_e32 v3, s46, v3
	v_mul_lo_u32 v5, v3, s44
	v_mul_hi_u32 v6, s42, v3
	v_sub_u32_e32 v5, v1, v5
	v_add_u32_e32 v1, v3, v6
	v_lshrrev_b32_e32 v1, s43, v1
	v_mul_lo_u32 v8, v1, s47
	v_mul_lo_u32 v6, v5, s52
	;; [unrolled: 1-line block ×4, first 2 shown]
	v_sub_u32_e32 v3, v3, v8
	v_mul_lo_u32 v8, v3, s55
	v_mul_lo_u32 v9, v3, s48
	;; [unrolled: 1-line block ×3, first 2 shown]
	v_add3_u32 v2, v6, v2, v8
	v_add3_u32 v0, v7, v0, v9
	;; [unrolled: 1-line block ×3, first 2 shown]
	s_cbranch_scc0 .LBB8_31
; %bb.32:
	s_bitcmp1_b32 s31, 0
	s_cselect_b64 s[42:43], -1, 0
	s_and_b64 vcc, exec, s[42:43]
	s_cbranch_vccnz .LBB8_34
; %bb.33:
	s_load_dwordx2 s[42:43], s[2:3], 0x1c
	s_load_dword s24, s[2:3], 0x24
	s_load_dwordx2 s[44:45], s[2:3], 0xdc
	s_waitcnt lgkmcnt(0)
	v_mul_hi_u32 v3, s43, v1
	v_add_u32_e32 v3, v1, v3
	v_lshrrev_b32_e32 v3, s24, v3
	v_mul_lo_u32 v3, v3, s42
	s_load_dword s24, s[2:3], 0xe4
	v_sub_u32_e32 v5, v1, v3
	v_mad_u64_u32 v[2:3], s[2:3], v5, s44, v[2:3]
	v_mad_u64_u32 v[0:1], s[2:3], v5, s45, v[0:1]
	s_waitcnt lgkmcnt(0)
	v_mad_u64_u32 v[4:5], s[2:3], v5, s24, v[4:5]
.LBB8_34:
	s_cbranch_execz .LBB8_36
	s_branch .LBB8_38
.LBB8_35:
                                        ; implicit-def: $vgpr2
                                        ; implicit-def: $vgpr0
                                        ; implicit-def: $vgpr4
.LBB8_36:
	v_mul_hi_u32 v0, s26, v11
	s_andn2_b64 vcc, exec, s[34:35]
	v_add_u32_e32 v0, v11, v0
	v_lshrrev_b32_e32 v1, s27, v0
	v_mul_lo_u32 v0, v1, s25
	v_sub_u32_e32 v3, v11, v0
	v_mul_lo_u32 v2, v3, s36
	v_mul_lo_u32 v0, v3, s37
	;; [unrolled: 1-line block ×3, first 2 shown]
	s_cbranch_vccnz .LBB8_38
; %bb.37:
	v_mul_hi_u32 v3, s29, v1
	v_add_u32_e32 v3, v1, v3
	v_lshrrev_b32_e32 v3, s30, v3
	v_mul_lo_u32 v3, v3, s28
	v_sub_u32_e32 v5, v1, v3
	v_mad_u64_u32 v[2:3], s[2:3], v5, s39, v[2:3]
	v_mad_u64_u32 v[0:1], s[2:3], v5, s6, v[0:1]
	;; [unrolled: 1-line block ×3, first 2 shown]
.LBB8_38:
	global_load_dwordx2 v[3:4], v4, s[12:13]
	v_mov_b32_e32 v5, 0
	v_mov_b32_e32 v6, 0
	s_waitcnt vmcnt(0)
	v_cmp_lt_i64_e32 vcc, s[14:15], v[3:4]
	s_and_saveexec_b64 s[42:43], vcc
	s_cbranch_execz .LBB8_44
; %bb.39:
	v_mov_b32_e32 v5, s15
	v_subrev_co_u32_e32 v1, vcc, s14, v3
	v_subb_co_u32_e32 v7, vcc, v4, v5, vcc
	v_or_b32_e32 v6, s17, v7
	v_mov_b32_e32 v5, 0
	v_cmp_ne_u64_e32 vcc, 0, v[5:6]
                                        ; implicit-def: $vgpr5_vgpr6
	s_and_saveexec_b64 s[2:3], vcc
	s_xor_b64 s[44:45], exec, s[2:3]
	s_cbranch_execz .LBB8_41
; %bb.40:
	s_ashr_i32 s46, s17, 31
	s_add_u32 s2, s16, s46
	s_mov_b32 s47, s46
	s_addc_u32 s3, s17, s46
	s_xor_b64 s[48:49], s[2:3], s[46:47]
	v_cvt_f32_u32_e32 v5, s48
	v_cvt_f32_u32_e32 v6, s49
	s_sub_u32 s24, 0, s48
	s_subb_u32 s47, 0, s49
	v_ashrrev_i32_e32 v9, 31, v7
	v_madmk_f32 v5, v6, 0x4f800000, v5
	v_rcp_f32_e32 v5, v5
	v_add_co_u32_e32 v1, vcc, v1, v9
	v_xor_b32_e32 v1, v1, v9
	v_mul_f32_e32 v5, 0x5f7ffffc, v5
	v_mul_f32_e32 v6, 0x2f800000, v5
	v_trunc_f32_e32 v6, v6
	v_madmk_f32 v5, v6, 0xcf800000, v5
	v_cvt_u32_f32_e32 v6, v6
	v_cvt_u32_f32_e32 v5, v5
	v_addc_co_u32_e32 v7, vcc, v7, v9, vcc
	v_readfirstlane_b32 s52, v6
	v_readfirstlane_b32 s2, v5
	s_mul_i32 s3, s24, s52
	s_mul_hi_u32 s54, s24, s2
	s_mul_i32 s53, s47, s2
	s_add_i32 s3, s54, s3
	s_add_i32 s3, s3, s53
	s_mul_i32 s55, s24, s2
	s_mul_i32 s54, s2, s3
	s_mul_hi_u32 s56, s2, s55
	s_mul_hi_u32 s53, s2, s3
	s_add_u32 s54, s56, s54
	s_addc_u32 s53, 0, s53
	s_mul_hi_u32 s57, s52, s55
	s_mul_i32 s55, s52, s55
	s_add_u32 s54, s54, s55
	s_mul_hi_u32 s56, s52, s3
	s_addc_u32 s53, s53, s57
	s_addc_u32 s54, s56, 0
	s_mul_i32 s3, s52, s3
	s_add_u32 s3, s53, s3
	s_addc_u32 s53, 0, s54
	s_add_u32 s54, s2, s3
	s_cselect_b64 s[2:3], -1, 0
	s_cmp_lg_u64 s[2:3], 0
	s_addc_u32 s52, s52, s53
	s_mul_i32 s2, s24, s52
	s_mul_hi_u32 s3, s24, s54
	s_add_i32 s2, s3, s2
	s_mul_i32 s47, s47, s54
	s_add_i32 s2, s2, s47
	s_mul_i32 s24, s24, s54
	s_mul_hi_u32 s47, s52, s24
	s_mul_i32 s53, s52, s24
	s_mul_i32 s56, s54, s2
	s_mul_hi_u32 s24, s54, s24
	s_mul_hi_u32 s55, s54, s2
	s_add_u32 s24, s24, s56
	s_addc_u32 s55, 0, s55
	s_add_u32 s24, s24, s53
	s_mul_hi_u32 s3, s52, s2
	s_addc_u32 s24, s55, s47
	s_addc_u32 s3, s3, 0
	s_mul_i32 s2, s52, s2
	s_add_u32 s2, s24, s2
	s_addc_u32 s24, 0, s3
	s_add_u32 s47, s54, s2
	s_cselect_b64 s[2:3], -1, 0
	s_cmp_lg_u64 s[2:3], 0
	s_addc_u32 s24, s52, s24
	v_mad_u64_u32 v[5:6], s[2:3], v1, s24, 0
	v_mul_hi_u32 v8, v1, s47
	v_xor_b32_e32 v10, v7, v9
	v_add_co_u32_e32 v12, vcc, v8, v5
	v_addc_co_u32_e32 v13, vcc, 0, v6, vcc
	v_mad_u64_u32 v[5:6], s[2:3], v10, s47, 0
	v_mad_u64_u32 v[7:8], s[2:3], v10, s24, 0
	v_add_co_u32_e32 v5, vcc, v12, v5
	v_addc_co_u32_e32 v5, vcc, v13, v6, vcc
	v_addc_co_u32_e32 v6, vcc, 0, v8, vcc
	v_add_co_u32_e32 v7, vcc, v5, v7
	v_addc_co_u32_e32 v8, vcc, 0, v6, vcc
	v_mul_lo_u32 v12, s49, v7
	v_mul_lo_u32 v13, s48, v8
	v_mad_u64_u32 v[5:6], s[2:3], s48, v7, 0
	v_add3_u32 v6, v6, v13, v12
	v_sub_u32_e32 v12, v10, v6
	v_mov_b32_e32 v13, s49
	v_sub_co_u32_e32 v1, vcc, v1, v5
	v_subb_co_u32_e64 v5, s[2:3], v12, v13, vcc
	v_subrev_co_u32_e64 v12, s[2:3], s48, v1
	v_subbrev_co_u32_e64 v5, s[2:3], 0, v5, s[2:3]
	v_cmp_le_u32_e64 s[2:3], s49, v5
	v_cndmask_b32_e64 v13, 0, -1, s[2:3]
	v_cmp_le_u32_e64 s[2:3], s48, v12
	v_cndmask_b32_e64 v12, 0, -1, s[2:3]
	v_cmp_eq_u32_e64 s[2:3], s49, v5
	v_cndmask_b32_e64 v5, v13, v12, s[2:3]
	v_add_co_u32_e64 v12, s[2:3], 2, v7
	v_subb_co_u32_e32 v6, vcc, v10, v6, vcc
	v_addc_co_u32_e64 v13, s[2:3], 0, v8, s[2:3]
	v_cmp_le_u32_e32 vcc, s49, v6
	v_add_co_u32_e64 v14, s[2:3], 1, v7
	v_cndmask_b32_e64 v10, 0, -1, vcc
	v_cmp_le_u32_e32 vcc, s48, v1
	v_addc_co_u32_e64 v15, s[2:3], 0, v8, s[2:3]
	v_cndmask_b32_e64 v1, 0, -1, vcc
	v_cmp_eq_u32_e32 vcc, s49, v6
	v_cmp_ne_u32_e64 s[2:3], 0, v5
	v_cndmask_b32_e32 v1, v10, v1, vcc
	v_cndmask_b32_e64 v5, v15, v13, s[2:3]
	v_cmp_ne_u32_e32 vcc, 0, v1
	v_cndmask_b32_e32 v1, v8, v5, vcc
	v_cndmask_b32_e64 v5, v14, v12, s[2:3]
	v_cndmask_b32_e32 v5, v7, v5, vcc
	v_xor_b32_e32 v6, s46, v9
	v_xor_b32_e32 v5, v5, v6
	;; [unrolled: 1-line block ×3, first 2 shown]
	v_sub_co_u32_e32 v5, vcc, v5, v6
	v_subb_co_u32_e32 v6, vcc, v1, v6, vcc
                                        ; implicit-def: $vgpr1
.LBB8_41:
	s_andn2_saveexec_b64 s[2:3], s[44:45]
	s_cbranch_execz .LBB8_43
; %bb.42:
	v_cvt_f32_u32_e32 v5, s16
	s_sub_i32 s24, 0, s16
	v_rcp_iflag_f32_e32 v5, v5
	v_mul_f32_e32 v5, 0x4f7ffffe, v5
	v_cvt_u32_f32_e32 v5, v5
	v_mul_lo_u32 v6, s24, v5
	v_mul_hi_u32 v6, v5, v6
	v_add_u32_e32 v5, v5, v6
	v_mul_hi_u32 v5, v1, v5
	v_mul_lo_u32 v6, v5, s16
	v_add_u32_e32 v7, 1, v5
	v_sub_u32_e32 v1, v1, v6
	v_subrev_u32_e32 v6, s16, v1
	v_cmp_le_u32_e32 vcc, s16, v1
	v_cndmask_b32_e32 v1, v1, v6, vcc
	v_cndmask_b32_e32 v5, v5, v7, vcc
	v_add_u32_e32 v6, 1, v5
	v_cmp_le_u32_e32 vcc, s16, v1
	v_cndmask_b32_e32 v5, v5, v6, vcc
	v_mov_b32_e32 v6, 0
.LBB8_43:
	s_or_b64 exec, exec, s[2:3]
.LBB8_44:
	s_or_b64 exec, exec, s[42:43]
	v_or_b32_e32 v8, s17, v4
	v_mov_b32_e32 v7, 0
	v_cmp_ne_u64_e32 vcc, 0, v[7:8]
                                        ; implicit-def: $vgpr7_vgpr8
	s_and_saveexec_b64 s[2:3], vcc
	s_xor_b64 s[42:43], exec, s[2:3]
	s_cbranch_execz .LBB8_46
; %bb.45:
	s_ashr_i32 s44, s17, 31
	s_add_u32 s2, s16, s44
	s_mov_b32 s45, s44
	s_addc_u32 s3, s17, s44
	s_xor_b64 s[46:47], s[2:3], s[44:45]
	v_cvt_f32_u32_e32 v1, s46
	v_cvt_f32_u32_e32 v7, s47
	s_sub_u32 s24, 0, s46
	s_subb_u32 s45, 0, s47
	v_madmk_f32 v1, v7, 0x4f800000, v1
	v_rcp_f32_e32 v1, v1
	v_mul_f32_e32 v1, 0x5f7ffffc, v1
	v_mul_f32_e32 v7, 0x2f800000, v1
	v_trunc_f32_e32 v7, v7
	v_madmk_f32 v1, v7, 0xcf800000, v1
	v_cvt_u32_f32_e32 v7, v7
	v_cvt_u32_f32_e32 v1, v1
	v_readfirstlane_b32 s48, v7
	v_readfirstlane_b32 s2, v1
	s_mul_i32 s3, s24, s48
	s_mul_hi_u32 s52, s24, s2
	s_mul_i32 s49, s45, s2
	s_add_i32 s3, s52, s3
	s_add_i32 s3, s3, s49
	s_mul_i32 s53, s24, s2
	s_mul_i32 s52, s2, s3
	s_mul_hi_u32 s54, s2, s53
	s_mul_hi_u32 s49, s2, s3
	s_add_u32 s52, s54, s52
	s_addc_u32 s49, 0, s49
	s_mul_hi_u32 s55, s48, s53
	s_mul_i32 s53, s48, s53
	s_add_u32 s52, s52, s53
	s_mul_hi_u32 s54, s48, s3
	s_addc_u32 s49, s49, s55
	s_addc_u32 s52, s54, 0
	s_mul_i32 s3, s48, s3
	s_add_u32 s3, s49, s3
	s_addc_u32 s49, 0, s52
	s_add_u32 s52, s2, s3
	s_cselect_b64 s[2:3], -1, 0
	s_cmp_lg_u64 s[2:3], 0
	s_addc_u32 s48, s48, s49
	s_mul_i32 s2, s24, s48
	s_mul_hi_u32 s3, s24, s52
	s_add_i32 s2, s3, s2
	s_mul_i32 s45, s45, s52
	s_add_i32 s2, s2, s45
	s_mul_i32 s24, s24, s52
	s_mul_hi_u32 s45, s48, s24
	s_mul_i32 s49, s48, s24
	s_mul_i32 s54, s52, s2
	s_mul_hi_u32 s24, s52, s24
	s_mul_hi_u32 s53, s52, s2
	s_add_u32 s24, s24, s54
	s_addc_u32 s53, 0, s53
	s_add_u32 s24, s24, s49
	s_mul_hi_u32 s3, s48, s2
	s_addc_u32 s24, s53, s45
	s_addc_u32 s3, s3, 0
	s_mul_i32 s2, s48, s2
	s_add_u32 s2, s24, s2
	s_addc_u32 s24, 0, s3
	s_add_u32 s45, s52, s2
	s_cselect_b64 s[2:3], -1, 0
	v_ashrrev_i32_e32 v1, 31, v4
	s_cmp_lg_u64 s[2:3], 0
	v_add_co_u32_e32 v7, vcc, v3, v1
	s_addc_u32 s24, s48, s24
	v_xor_b32_e32 v12, v7, v1
	v_mad_u64_u32 v[7:8], s[2:3], v12, s24, 0
	v_mul_hi_u32 v10, v12, s45
	v_addc_co_u32_e32 v9, vcc, v4, v1, vcc
	v_xor_b32_e32 v13, v9, v1
	v_add_co_u32_e32 v14, vcc, v10, v7
	v_addc_co_u32_e32 v15, vcc, 0, v8, vcc
	v_mad_u64_u32 v[7:8], s[2:3], v13, s45, 0
	v_mad_u64_u32 v[9:10], s[2:3], v13, s24, 0
	v_add_co_u32_e32 v7, vcc, v14, v7
	v_addc_co_u32_e32 v7, vcc, v15, v8, vcc
	v_addc_co_u32_e32 v8, vcc, 0, v10, vcc
	v_add_co_u32_e32 v9, vcc, v7, v9
	v_addc_co_u32_e32 v10, vcc, 0, v8, vcc
	v_mul_lo_u32 v14, s47, v9
	v_mul_lo_u32 v15, s46, v10
	v_mad_u64_u32 v[7:8], s[2:3], s46, v9, 0
	v_xor_b32_e32 v1, s44, v1
	v_add3_u32 v8, v8, v15, v14
	v_sub_u32_e32 v14, v13, v8
	v_mov_b32_e32 v15, s47
	v_sub_co_u32_e32 v7, vcc, v12, v7
	v_subb_co_u32_e64 v12, s[2:3], v14, v15, vcc
	v_subrev_co_u32_e64 v14, s[2:3], s46, v7
	v_subbrev_co_u32_e64 v12, s[2:3], 0, v12, s[2:3]
	v_cmp_le_u32_e64 s[2:3], s47, v12
	v_cndmask_b32_e64 v15, 0, -1, s[2:3]
	v_cmp_le_u32_e64 s[2:3], s46, v14
	v_cndmask_b32_e64 v14, 0, -1, s[2:3]
	v_cmp_eq_u32_e64 s[2:3], s47, v12
	v_cndmask_b32_e64 v12, v15, v14, s[2:3]
	v_add_co_u32_e64 v14, s[2:3], 2, v9
	v_subb_co_u32_e32 v8, vcc, v13, v8, vcc
	v_addc_co_u32_e64 v15, s[2:3], 0, v10, s[2:3]
	v_cmp_le_u32_e32 vcc, s47, v8
	v_add_co_u32_e64 v16, s[2:3], 1, v9
	v_cndmask_b32_e64 v13, 0, -1, vcc
	v_cmp_le_u32_e32 vcc, s46, v7
	v_addc_co_u32_e64 v17, s[2:3], 0, v10, s[2:3]
	v_cndmask_b32_e64 v7, 0, -1, vcc
	v_cmp_eq_u32_e32 vcc, s47, v8
	v_cmp_ne_u32_e64 s[2:3], 0, v12
	v_cndmask_b32_e32 v7, v13, v7, vcc
	v_cndmask_b32_e64 v12, v17, v15, s[2:3]
	v_cmp_ne_u32_e32 vcc, 0, v7
	v_cndmask_b32_e64 v8, v16, v14, s[2:3]
	v_cndmask_b32_e32 v7, v10, v12, vcc
	v_cndmask_b32_e32 v8, v9, v8, vcc
	v_xor_b32_e32 v9, v7, v1
	v_xor_b32_e32 v7, v8, v1
	v_sub_co_u32_e32 v7, vcc, v7, v1
	v_subb_co_u32_e32 v8, vcc, v9, v1, vcc
.LBB8_46:
	s_andn2_saveexec_b64 s[2:3], s[42:43]
	s_cbranch_execz .LBB8_48
; %bb.47:
	v_cvt_f32_u32_e32 v1, s16
	s_sub_i32 s24, 0, s16
	v_rcp_iflag_f32_e32 v1, v1
	v_mul_f32_e32 v1, 0x4f7ffffe, v1
	v_cvt_u32_f32_e32 v1, v1
	v_mul_lo_u32 v7, s24, v1
	v_mul_hi_u32 v7, v1, v7
	v_add_u32_e32 v1, v1, v7
	v_mul_hi_u32 v1, v3, v1
	v_mul_lo_u32 v7, v1, s16
	v_add_u32_e32 v8, 1, v1
	v_sub_u32_e32 v7, v3, v7
	v_subrev_u32_e32 v9, s16, v7
	v_cmp_le_u32_e32 vcc, s16, v7
	v_cndmask_b32_e32 v7, v7, v9, vcc
	v_cndmask_b32_e32 v1, v1, v8, vcc
	v_add_u32_e32 v8, 1, v1
	v_cmp_le_u32_e32 vcc, s16, v7
	v_cndmask_b32_e32 v7, v1, v8, vcc
	v_mov_b32_e32 v8, 0
.LBB8_48:
	s_or_b64 exec, exec, s[2:3]
	v_mul_lo_u32 v1, v6, s16
	v_mul_lo_u32 v12, v5, s17
	v_mad_u64_u32 v[9:10], s[2:3], v5, s16, 0
	v_add3_u32 v10, v10, v12, v1
	v_cmp_gt_i64_e32 vcc, v[9:10], v[3:4]
	v_mov_b32_e32 v1, s15
	v_add_co_u32_e64 v9, s[2:3], s14, v9
	v_addc_co_u32_e64 v10, s[2:3], v10, v1, s[2:3]
	v_cmp_ge_i64_e64 s[2:3], v[3:4], v[9:10]
	s_or_b64 s[2:3], vcc, s[2:3]
	v_cndmask_b32_e64 v1, 0, 1, s[2:3]
	v_add_co_u32_e32 v9, vcc, v5, v1
	v_addc_co_u32_e32 v10, vcc, 0, v6, vcc
	v_cmp_gt_i64_e32 vcc, s[4:5], v[7:8]
	v_mov_b32_e32 v1, s5
	v_cndmask_b32_e32 v6, v1, v8, vcc
	v_mov_b32_e32 v1, s4
	v_cndmask_b32_e32 v5, v1, v7, vcc
	v_cmp_le_i64_e32 vcc, v[9:10], v[5:6]
	s_and_saveexec_b64 s[42:43], vcc
	s_cbranch_execz .LBB8_51
; %bb.49:
	global_load_dwordx2 v[7:8], v2, s[8:9]
	v_mul_lo_u32 v15, s17, v9
	v_mul_lo_u32 v16, s16, v10
	v_mad_u64_u32 v[12:13], s[2:3], s16, v9, 0
	v_mov_b32_e32 v14, s9
	v_add_co_u32_e32 v1, vcc, s8, v2
	v_addc_co_u32_e32 v2, vcc, 0, v14, vcc
	v_add3_u32 v13, v13, v16, v15
	v_sub_co_u32_e32 v3, vcc, v3, v12
	v_subb_co_u32_e32 v4, vcc, v4, v13, vcc
	v_mul_lo_u32 v16, s23, v3
	v_mul_lo_u32 v17, s22, v4
	v_mad_u64_u32 v[12:13], s[2:3], s22, v3, 0
	v_mul_lo_u32 v18, s21, v9
	v_mul_lo_u32 v19, s20, v10
	v_mad_u64_u32 v[14:15], s[2:3], s20, v9, 0
	v_add_co_u32_e32 v3, vcc, -1, v9
	v_add3_u32 v13, v13, v17, v16
	v_add3_u32 v15, v15, v19, v18
	v_addc_co_u32_e32 v4, vcc, -1, v10, vcc
	v_lshlrev_b64 v[9:10], 3, v[12:13]
	v_lshlrev_b64 v[12:13], 3, v[14:15]
	s_mul_i32 s24, s16, s23
	v_add_co_u32_e32 v9, vcc, v9, v12
	v_addc_co_u32_e32 v10, vcc, v10, v13, vcc
	v_add_co_u32_e32 v0, vcc, v9, v0
	s_mul_hi_u32 s44, s16, s22
	v_addc_co_u32_e32 v9, vcc, 0, v10, vcc
	s_add_i32 s24, s44, s24
	s_mul_i32 s44, s17, s22
	v_mov_b32_e32 v10, s11
	v_add_co_u32_e32 v0, vcc, s10, v0
	s_add_i32 s45, s24, s44
	s_mul_i32 s44, s16, s22
	v_addc_co_u32_e32 v10, vcc, v10, v9, vcc
	s_lshl_b64 s[2:3], s[20:21], 3
	s_lshl_b64 s[44:45], s[44:45], 3
	v_add_co_u32_e32 v9, vcc, 4, v0
	s_sub_u32 s24, s2, s44
	v_addc_co_u32_e32 v10, vcc, 0, v10, vcc
	s_subb_u32 s46, s3, s45
	s_mov_b64 s[44:45], 0
.LBB8_50:                               ; =>This Inner Loop Header: Depth=1
	global_load_dwordx2 v[12:13], v[9:10], off offset:-4
	v_add_co_u32_e32 v3, vcc, 1, v3
	v_addc_co_u32_e32 v4, vcc, 0, v4, vcc
	v_cmp_ge_i64_e64 s[2:3], v[3:4], v[5:6]
	v_mov_b32_e32 v0, s46
	v_add_co_u32_e32 v9, vcc, s24, v9
	v_addc_co_u32_e32 v10, vcc, v10, v0, vcc
	s_or_b64 s[44:45], s[2:3], s[44:45]
	s_waitcnt vmcnt(0)
	v_add_f32_e32 v7, v7, v12
	v_add_f32_e32 v8, v8, v13
	global_store_dwordx2 v[1:2], v[7:8], off
	s_andn2_b64 exec, exec, s[44:45]
	s_cbranch_execnz .LBB8_50
.LBB8_51:
	s_or_b64 exec, exec, s[42:43]
	v_add_u32_e32 v11, 0x100, v11
	s_or_b64 exec, exec, s[18:19]
	v_cmp_gt_i32_e32 vcc, s51, v11
	s_and_saveexec_b64 s[18:19], vcc
	s_cbranch_execz .LBB8_3
.LBB8_52:
	s_and_b64 vcc, exec, s[0:1]
	s_cbranch_vccnz .LBB8_59
; %bb.53:
	v_mov_b32_e32 v2, 0
	s_andn2_b64 vcc, exec, s[40:41]
	v_mov_b32_e32 v0, 0
	v_mov_b32_e32 v4, 0
	s_cbranch_vccnz .LBB8_58
; %bb.54:
	s_add_i32 s2, s31, 1
	s_and_b32 s24, s2, 30
	s_add_u32 s2, s33, 0xffffffe8
	s_addc_u32 s3, s50, -1
	v_mov_b32_e32 v4, 0
	v_mov_b32_e32 v0, 0
	;; [unrolled: 1-line block ×4, first 2 shown]
.LBB8_55:                               ; =>This Inner Loop Header: Depth=1
	s_load_dwordx4 s[44:47], s[2:3], 0x1c
	s_load_dwordx2 s[42:43], s[2:3], 0x2c
	s_load_dwordx2 s[48:49], s[2:3], 0xec
	s_load_dwordx4 s[52:55], s[2:3], 0xdc
	s_add_u32 s2, s2, 24
	s_waitcnt lgkmcnt(0)
	v_mul_hi_u32 v3, s45, v1
	s_addc_u32 s3, s3, 0
	s_add_i32 s24, s24, -2
	s_cmp_eq_u32 s24, 0
	v_add_u32_e32 v3, v1, v3
	v_lshrrev_b32_e32 v3, s46, v3
	v_mul_lo_u32 v5, v3, s44
	v_mul_hi_u32 v6, s42, v3
	v_sub_u32_e32 v5, v1, v5
	v_add_u32_e32 v1, v3, v6
	v_lshrrev_b32_e32 v1, s43, v1
	v_mul_lo_u32 v8, v1, s47
	v_mul_lo_u32 v6, v5, s52
	;; [unrolled: 1-line block ×4, first 2 shown]
	v_sub_u32_e32 v3, v3, v8
	v_mul_lo_u32 v8, v3, s55
	v_mul_lo_u32 v9, v3, s48
	;; [unrolled: 1-line block ×3, first 2 shown]
	v_add3_u32 v2, v6, v2, v8
	v_add3_u32 v0, v7, v0, v9
	;; [unrolled: 1-line block ×3, first 2 shown]
	s_cbranch_scc0 .LBB8_55
; %bb.56:
	s_bitcmp1_b32 s31, 0
	s_cselect_b64 s[42:43], -1, 0
	s_and_b64 vcc, exec, s[42:43]
	s_cbranch_vccnz .LBB8_58
; %bb.57:
	s_load_dwordx2 s[42:43], s[2:3], 0x1c
	s_load_dword s24, s[2:3], 0x24
	s_load_dwordx2 s[44:45], s[2:3], 0xdc
	s_waitcnt lgkmcnt(0)
	v_mul_hi_u32 v3, s43, v1
	v_add_u32_e32 v3, v1, v3
	v_lshrrev_b32_e32 v3, s24, v3
	v_mul_lo_u32 v3, v3, s42
	s_load_dword s24, s[2:3], 0xe4
	v_sub_u32_e32 v5, v1, v3
	v_mad_u64_u32 v[2:3], s[2:3], v5, s44, v[2:3]
	v_mad_u64_u32 v[0:1], s[2:3], v5, s45, v[0:1]
	s_waitcnt lgkmcnt(0)
	v_mad_u64_u32 v[4:5], s[2:3], v5, s24, v[4:5]
.LBB8_58:
	s_cbranch_execz .LBB8_60
	s_branch .LBB8_62
.LBB8_59:
                                        ; implicit-def: $vgpr2
                                        ; implicit-def: $vgpr0
                                        ; implicit-def: $vgpr4
.LBB8_60:
	v_mul_hi_u32 v0, s26, v11
	s_andn2_b64 vcc, exec, s[34:35]
	v_add_u32_e32 v0, v11, v0
	v_lshrrev_b32_e32 v1, s27, v0
	v_mul_lo_u32 v0, v1, s25
	v_sub_u32_e32 v3, v11, v0
	v_mul_lo_u32 v2, v3, s36
	v_mul_lo_u32 v0, v3, s37
	;; [unrolled: 1-line block ×3, first 2 shown]
	s_cbranch_vccnz .LBB8_62
; %bb.61:
	v_mul_hi_u32 v3, s29, v1
	v_add_u32_e32 v3, v1, v3
	v_lshrrev_b32_e32 v3, s30, v3
	v_mul_lo_u32 v3, v3, s28
	v_sub_u32_e32 v5, v1, v3
	v_mad_u64_u32 v[2:3], s[2:3], v5, s39, v[2:3]
	v_mad_u64_u32 v[0:1], s[2:3], v5, s6, v[0:1]
	;; [unrolled: 1-line block ×3, first 2 shown]
.LBB8_62:
	global_load_dwordx2 v[3:4], v4, s[12:13]
	v_mov_b32_e32 v5, 0
	v_mov_b32_e32 v6, 0
	s_waitcnt vmcnt(0)
	v_cmp_lt_i64_e32 vcc, s[14:15], v[3:4]
	s_and_saveexec_b64 s[42:43], vcc
	s_cbranch_execz .LBB8_68
; %bb.63:
	v_mov_b32_e32 v5, s15
	v_subrev_co_u32_e32 v1, vcc, s14, v3
	v_subb_co_u32_e32 v7, vcc, v4, v5, vcc
	v_or_b32_e32 v6, s17, v7
	v_mov_b32_e32 v5, 0
	v_cmp_ne_u64_e32 vcc, 0, v[5:6]
                                        ; implicit-def: $vgpr5_vgpr6
	s_and_saveexec_b64 s[2:3], vcc
	s_xor_b64 s[44:45], exec, s[2:3]
	s_cbranch_execz .LBB8_65
; %bb.64:
	s_ashr_i32 s46, s17, 31
	s_add_u32 s2, s16, s46
	s_mov_b32 s47, s46
	s_addc_u32 s3, s17, s46
	s_xor_b64 s[48:49], s[2:3], s[46:47]
	v_cvt_f32_u32_e32 v5, s48
	v_cvt_f32_u32_e32 v6, s49
	s_sub_u32 s24, 0, s48
	s_subb_u32 s47, 0, s49
	v_ashrrev_i32_e32 v9, 31, v7
	v_madmk_f32 v5, v6, 0x4f800000, v5
	v_rcp_f32_e32 v5, v5
	v_add_co_u32_e32 v1, vcc, v1, v9
	v_xor_b32_e32 v1, v1, v9
	v_mul_f32_e32 v5, 0x5f7ffffc, v5
	v_mul_f32_e32 v6, 0x2f800000, v5
	v_trunc_f32_e32 v6, v6
	v_madmk_f32 v5, v6, 0xcf800000, v5
	v_cvt_u32_f32_e32 v6, v6
	v_cvt_u32_f32_e32 v5, v5
	v_addc_co_u32_e32 v7, vcc, v7, v9, vcc
	v_readfirstlane_b32 s52, v6
	v_readfirstlane_b32 s2, v5
	s_mul_i32 s3, s24, s52
	s_mul_hi_u32 s54, s24, s2
	s_mul_i32 s53, s47, s2
	s_add_i32 s3, s54, s3
	s_add_i32 s3, s3, s53
	s_mul_i32 s55, s24, s2
	s_mul_i32 s54, s2, s3
	s_mul_hi_u32 s56, s2, s55
	s_mul_hi_u32 s53, s2, s3
	s_add_u32 s54, s56, s54
	s_addc_u32 s53, 0, s53
	s_mul_hi_u32 s57, s52, s55
	s_mul_i32 s55, s52, s55
	s_add_u32 s54, s54, s55
	s_mul_hi_u32 s56, s52, s3
	s_addc_u32 s53, s53, s57
	s_addc_u32 s54, s56, 0
	s_mul_i32 s3, s52, s3
	s_add_u32 s3, s53, s3
	s_addc_u32 s53, 0, s54
	s_add_u32 s54, s2, s3
	s_cselect_b64 s[2:3], -1, 0
	s_cmp_lg_u64 s[2:3], 0
	s_addc_u32 s52, s52, s53
	s_mul_i32 s2, s24, s52
	s_mul_hi_u32 s3, s24, s54
	s_add_i32 s2, s3, s2
	s_mul_i32 s47, s47, s54
	s_add_i32 s2, s2, s47
	s_mul_i32 s24, s24, s54
	s_mul_hi_u32 s47, s52, s24
	s_mul_i32 s53, s52, s24
	s_mul_i32 s56, s54, s2
	s_mul_hi_u32 s24, s54, s24
	s_mul_hi_u32 s55, s54, s2
	s_add_u32 s24, s24, s56
	s_addc_u32 s55, 0, s55
	s_add_u32 s24, s24, s53
	s_mul_hi_u32 s3, s52, s2
	s_addc_u32 s24, s55, s47
	s_addc_u32 s3, s3, 0
	s_mul_i32 s2, s52, s2
	s_add_u32 s2, s24, s2
	s_addc_u32 s24, 0, s3
	s_add_u32 s47, s54, s2
	s_cselect_b64 s[2:3], -1, 0
	s_cmp_lg_u64 s[2:3], 0
	s_addc_u32 s24, s52, s24
	v_mad_u64_u32 v[5:6], s[2:3], v1, s24, 0
	v_mul_hi_u32 v8, v1, s47
	v_xor_b32_e32 v10, v7, v9
	v_add_co_u32_e32 v12, vcc, v8, v5
	v_addc_co_u32_e32 v13, vcc, 0, v6, vcc
	v_mad_u64_u32 v[5:6], s[2:3], v10, s47, 0
	v_mad_u64_u32 v[7:8], s[2:3], v10, s24, 0
	v_add_co_u32_e32 v5, vcc, v12, v5
	v_addc_co_u32_e32 v5, vcc, v13, v6, vcc
	v_addc_co_u32_e32 v6, vcc, 0, v8, vcc
	v_add_co_u32_e32 v7, vcc, v5, v7
	v_addc_co_u32_e32 v8, vcc, 0, v6, vcc
	v_mul_lo_u32 v12, s49, v7
	v_mul_lo_u32 v13, s48, v8
	v_mad_u64_u32 v[5:6], s[2:3], s48, v7, 0
	v_add3_u32 v6, v6, v13, v12
	v_sub_u32_e32 v12, v10, v6
	v_mov_b32_e32 v13, s49
	v_sub_co_u32_e32 v1, vcc, v1, v5
	v_subb_co_u32_e64 v5, s[2:3], v12, v13, vcc
	v_subrev_co_u32_e64 v12, s[2:3], s48, v1
	v_subbrev_co_u32_e64 v5, s[2:3], 0, v5, s[2:3]
	v_cmp_le_u32_e64 s[2:3], s49, v5
	v_cndmask_b32_e64 v13, 0, -1, s[2:3]
	v_cmp_le_u32_e64 s[2:3], s48, v12
	v_cndmask_b32_e64 v12, 0, -1, s[2:3]
	v_cmp_eq_u32_e64 s[2:3], s49, v5
	v_cndmask_b32_e64 v5, v13, v12, s[2:3]
	v_add_co_u32_e64 v12, s[2:3], 2, v7
	v_subb_co_u32_e32 v6, vcc, v10, v6, vcc
	v_addc_co_u32_e64 v13, s[2:3], 0, v8, s[2:3]
	v_cmp_le_u32_e32 vcc, s49, v6
	v_add_co_u32_e64 v14, s[2:3], 1, v7
	v_cndmask_b32_e64 v10, 0, -1, vcc
	v_cmp_le_u32_e32 vcc, s48, v1
	v_addc_co_u32_e64 v15, s[2:3], 0, v8, s[2:3]
	v_cndmask_b32_e64 v1, 0, -1, vcc
	v_cmp_eq_u32_e32 vcc, s49, v6
	v_cmp_ne_u32_e64 s[2:3], 0, v5
	v_cndmask_b32_e32 v1, v10, v1, vcc
	v_cndmask_b32_e64 v5, v15, v13, s[2:3]
	v_cmp_ne_u32_e32 vcc, 0, v1
	v_cndmask_b32_e32 v1, v8, v5, vcc
	v_cndmask_b32_e64 v5, v14, v12, s[2:3]
	v_cndmask_b32_e32 v5, v7, v5, vcc
	v_xor_b32_e32 v6, s46, v9
	v_xor_b32_e32 v5, v5, v6
	;; [unrolled: 1-line block ×3, first 2 shown]
	v_sub_co_u32_e32 v5, vcc, v5, v6
	v_subb_co_u32_e32 v6, vcc, v1, v6, vcc
                                        ; implicit-def: $vgpr1
.LBB8_65:
	s_andn2_saveexec_b64 s[2:3], s[44:45]
	s_cbranch_execz .LBB8_67
; %bb.66:
	v_cvt_f32_u32_e32 v5, s16
	s_sub_i32 s24, 0, s16
	v_rcp_iflag_f32_e32 v5, v5
	v_mul_f32_e32 v5, 0x4f7ffffe, v5
	v_cvt_u32_f32_e32 v5, v5
	v_mul_lo_u32 v6, s24, v5
	v_mul_hi_u32 v6, v5, v6
	v_add_u32_e32 v5, v5, v6
	v_mul_hi_u32 v5, v1, v5
	v_mul_lo_u32 v6, v5, s16
	v_add_u32_e32 v7, 1, v5
	v_sub_u32_e32 v1, v1, v6
	v_subrev_u32_e32 v6, s16, v1
	v_cmp_le_u32_e32 vcc, s16, v1
	v_cndmask_b32_e32 v1, v1, v6, vcc
	v_cndmask_b32_e32 v5, v5, v7, vcc
	v_add_u32_e32 v6, 1, v5
	v_cmp_le_u32_e32 vcc, s16, v1
	v_cndmask_b32_e32 v5, v5, v6, vcc
	v_mov_b32_e32 v6, 0
.LBB8_67:
	s_or_b64 exec, exec, s[2:3]
.LBB8_68:
	s_or_b64 exec, exec, s[42:43]
	v_or_b32_e32 v8, s17, v4
	v_mov_b32_e32 v7, 0
	v_cmp_ne_u64_e32 vcc, 0, v[7:8]
                                        ; implicit-def: $vgpr7_vgpr8
	s_and_saveexec_b64 s[2:3], vcc
	s_xor_b64 s[42:43], exec, s[2:3]
	s_cbranch_execz .LBB8_70
; %bb.69:
	s_ashr_i32 s44, s17, 31
	s_add_u32 s2, s16, s44
	s_mov_b32 s45, s44
	s_addc_u32 s3, s17, s44
	s_xor_b64 s[46:47], s[2:3], s[44:45]
	v_cvt_f32_u32_e32 v1, s46
	v_cvt_f32_u32_e32 v7, s47
	s_sub_u32 s24, 0, s46
	s_subb_u32 s45, 0, s47
	v_madmk_f32 v1, v7, 0x4f800000, v1
	v_rcp_f32_e32 v1, v1
	v_mul_f32_e32 v1, 0x5f7ffffc, v1
	v_mul_f32_e32 v7, 0x2f800000, v1
	v_trunc_f32_e32 v7, v7
	v_madmk_f32 v1, v7, 0xcf800000, v1
	v_cvt_u32_f32_e32 v7, v7
	v_cvt_u32_f32_e32 v1, v1
	v_readfirstlane_b32 s48, v7
	v_readfirstlane_b32 s2, v1
	s_mul_i32 s3, s24, s48
	s_mul_hi_u32 s52, s24, s2
	s_mul_i32 s49, s45, s2
	s_add_i32 s3, s52, s3
	s_add_i32 s3, s3, s49
	s_mul_i32 s53, s24, s2
	s_mul_i32 s52, s2, s3
	s_mul_hi_u32 s54, s2, s53
	s_mul_hi_u32 s49, s2, s3
	s_add_u32 s52, s54, s52
	s_addc_u32 s49, 0, s49
	s_mul_hi_u32 s55, s48, s53
	s_mul_i32 s53, s48, s53
	s_add_u32 s52, s52, s53
	s_mul_hi_u32 s54, s48, s3
	s_addc_u32 s49, s49, s55
	s_addc_u32 s52, s54, 0
	s_mul_i32 s3, s48, s3
	s_add_u32 s3, s49, s3
	s_addc_u32 s49, 0, s52
	s_add_u32 s52, s2, s3
	s_cselect_b64 s[2:3], -1, 0
	s_cmp_lg_u64 s[2:3], 0
	s_addc_u32 s48, s48, s49
	s_mul_i32 s2, s24, s48
	s_mul_hi_u32 s3, s24, s52
	s_add_i32 s2, s3, s2
	s_mul_i32 s45, s45, s52
	s_add_i32 s2, s2, s45
	s_mul_i32 s24, s24, s52
	s_mul_hi_u32 s45, s48, s24
	s_mul_i32 s49, s48, s24
	s_mul_i32 s54, s52, s2
	s_mul_hi_u32 s24, s52, s24
	s_mul_hi_u32 s53, s52, s2
	s_add_u32 s24, s24, s54
	s_addc_u32 s53, 0, s53
	s_add_u32 s24, s24, s49
	s_mul_hi_u32 s3, s48, s2
	s_addc_u32 s24, s53, s45
	s_addc_u32 s3, s3, 0
	s_mul_i32 s2, s48, s2
	s_add_u32 s2, s24, s2
	s_addc_u32 s24, 0, s3
	s_add_u32 s45, s52, s2
	s_cselect_b64 s[2:3], -1, 0
	v_ashrrev_i32_e32 v1, 31, v4
	s_cmp_lg_u64 s[2:3], 0
	v_add_co_u32_e32 v7, vcc, v3, v1
	s_addc_u32 s24, s48, s24
	v_xor_b32_e32 v12, v7, v1
	v_mad_u64_u32 v[7:8], s[2:3], v12, s24, 0
	v_mul_hi_u32 v10, v12, s45
	v_addc_co_u32_e32 v9, vcc, v4, v1, vcc
	v_xor_b32_e32 v13, v9, v1
	v_add_co_u32_e32 v14, vcc, v10, v7
	v_addc_co_u32_e32 v15, vcc, 0, v8, vcc
	v_mad_u64_u32 v[7:8], s[2:3], v13, s45, 0
	v_mad_u64_u32 v[9:10], s[2:3], v13, s24, 0
	v_add_co_u32_e32 v7, vcc, v14, v7
	v_addc_co_u32_e32 v7, vcc, v15, v8, vcc
	v_addc_co_u32_e32 v8, vcc, 0, v10, vcc
	v_add_co_u32_e32 v9, vcc, v7, v9
	v_addc_co_u32_e32 v10, vcc, 0, v8, vcc
	v_mul_lo_u32 v14, s47, v9
	v_mul_lo_u32 v15, s46, v10
	v_mad_u64_u32 v[7:8], s[2:3], s46, v9, 0
	v_xor_b32_e32 v1, s44, v1
	v_add3_u32 v8, v8, v15, v14
	v_sub_u32_e32 v14, v13, v8
	v_mov_b32_e32 v15, s47
	v_sub_co_u32_e32 v7, vcc, v12, v7
	v_subb_co_u32_e64 v12, s[2:3], v14, v15, vcc
	v_subrev_co_u32_e64 v14, s[2:3], s46, v7
	v_subbrev_co_u32_e64 v12, s[2:3], 0, v12, s[2:3]
	v_cmp_le_u32_e64 s[2:3], s47, v12
	v_cndmask_b32_e64 v15, 0, -1, s[2:3]
	v_cmp_le_u32_e64 s[2:3], s46, v14
	v_cndmask_b32_e64 v14, 0, -1, s[2:3]
	v_cmp_eq_u32_e64 s[2:3], s47, v12
	v_cndmask_b32_e64 v12, v15, v14, s[2:3]
	v_add_co_u32_e64 v14, s[2:3], 2, v9
	v_subb_co_u32_e32 v8, vcc, v13, v8, vcc
	v_addc_co_u32_e64 v15, s[2:3], 0, v10, s[2:3]
	v_cmp_le_u32_e32 vcc, s47, v8
	v_add_co_u32_e64 v16, s[2:3], 1, v9
	v_cndmask_b32_e64 v13, 0, -1, vcc
	v_cmp_le_u32_e32 vcc, s46, v7
	v_addc_co_u32_e64 v17, s[2:3], 0, v10, s[2:3]
	v_cndmask_b32_e64 v7, 0, -1, vcc
	v_cmp_eq_u32_e32 vcc, s47, v8
	v_cmp_ne_u32_e64 s[2:3], 0, v12
	v_cndmask_b32_e32 v7, v13, v7, vcc
	v_cndmask_b32_e64 v12, v17, v15, s[2:3]
	v_cmp_ne_u32_e32 vcc, 0, v7
	v_cndmask_b32_e64 v8, v16, v14, s[2:3]
	v_cndmask_b32_e32 v7, v10, v12, vcc
	v_cndmask_b32_e32 v8, v9, v8, vcc
	v_xor_b32_e32 v9, v7, v1
	v_xor_b32_e32 v7, v8, v1
	v_sub_co_u32_e32 v7, vcc, v7, v1
	v_subb_co_u32_e32 v8, vcc, v9, v1, vcc
.LBB8_70:
	s_andn2_saveexec_b64 s[2:3], s[42:43]
	s_cbranch_execz .LBB8_72
; %bb.71:
	v_cvt_f32_u32_e32 v1, s16
	s_sub_i32 s24, 0, s16
	v_rcp_iflag_f32_e32 v1, v1
	v_mul_f32_e32 v1, 0x4f7ffffe, v1
	v_cvt_u32_f32_e32 v1, v1
	v_mul_lo_u32 v7, s24, v1
	v_mul_hi_u32 v7, v1, v7
	v_add_u32_e32 v1, v1, v7
	v_mul_hi_u32 v1, v3, v1
	v_mul_lo_u32 v7, v1, s16
	v_add_u32_e32 v8, 1, v1
	v_sub_u32_e32 v7, v3, v7
	v_subrev_u32_e32 v9, s16, v7
	v_cmp_le_u32_e32 vcc, s16, v7
	v_cndmask_b32_e32 v7, v7, v9, vcc
	v_cndmask_b32_e32 v1, v1, v8, vcc
	v_add_u32_e32 v8, 1, v1
	v_cmp_le_u32_e32 vcc, s16, v7
	v_cndmask_b32_e32 v7, v1, v8, vcc
	v_mov_b32_e32 v8, 0
.LBB8_72:
	s_or_b64 exec, exec, s[2:3]
	v_mul_lo_u32 v1, v6, s16
	v_mul_lo_u32 v12, v5, s17
	v_mad_u64_u32 v[9:10], s[2:3], v5, s16, 0
	v_add3_u32 v10, v10, v12, v1
	v_cmp_gt_i64_e32 vcc, v[9:10], v[3:4]
	v_mov_b32_e32 v1, s15
	v_add_co_u32_e64 v9, s[2:3], s14, v9
	v_addc_co_u32_e64 v10, s[2:3], v10, v1, s[2:3]
	v_cmp_ge_i64_e64 s[2:3], v[3:4], v[9:10]
	s_or_b64 s[2:3], vcc, s[2:3]
	v_cndmask_b32_e64 v1, 0, 1, s[2:3]
	v_add_co_u32_e32 v9, vcc, v5, v1
	v_addc_co_u32_e32 v10, vcc, 0, v6, vcc
	v_cmp_gt_i64_e32 vcc, s[4:5], v[7:8]
	v_mov_b32_e32 v1, s5
	v_cndmask_b32_e32 v6, v1, v8, vcc
	v_mov_b32_e32 v1, s4
	v_cndmask_b32_e32 v5, v1, v7, vcc
	v_cmp_le_i64_e32 vcc, v[9:10], v[5:6]
	s_and_saveexec_b64 s[42:43], vcc
	s_cbranch_execz .LBB8_75
; %bb.73:
	global_load_dwordx2 v[7:8], v2, s[8:9]
	v_mul_lo_u32 v15, s17, v9
	v_mul_lo_u32 v16, s16, v10
	v_mad_u64_u32 v[12:13], s[2:3], s16, v9, 0
	v_mov_b32_e32 v14, s9
	v_add_co_u32_e32 v1, vcc, s8, v2
	v_addc_co_u32_e32 v2, vcc, 0, v14, vcc
	v_add3_u32 v13, v13, v16, v15
	v_sub_co_u32_e32 v3, vcc, v3, v12
	v_subb_co_u32_e32 v4, vcc, v4, v13, vcc
	v_mul_lo_u32 v16, s23, v3
	v_mul_lo_u32 v17, s22, v4
	v_mad_u64_u32 v[12:13], s[2:3], s22, v3, 0
	v_mul_lo_u32 v18, s21, v9
	v_mul_lo_u32 v19, s20, v10
	v_mad_u64_u32 v[14:15], s[2:3], s20, v9, 0
	v_add_co_u32_e32 v3, vcc, -1, v9
	v_add3_u32 v13, v13, v17, v16
	v_add3_u32 v15, v15, v19, v18
	v_addc_co_u32_e32 v4, vcc, -1, v10, vcc
	v_lshlrev_b64 v[9:10], 3, v[12:13]
	v_lshlrev_b64 v[12:13], 3, v[14:15]
	s_mul_i32 s24, s16, s23
	v_add_co_u32_e32 v9, vcc, v9, v12
	v_addc_co_u32_e32 v10, vcc, v10, v13, vcc
	v_add_co_u32_e32 v0, vcc, v9, v0
	s_mul_hi_u32 s44, s16, s22
	v_addc_co_u32_e32 v9, vcc, 0, v10, vcc
	s_add_i32 s24, s44, s24
	s_mul_i32 s44, s17, s22
	v_mov_b32_e32 v10, s11
	v_add_co_u32_e32 v0, vcc, s10, v0
	s_add_i32 s45, s24, s44
	s_mul_i32 s44, s16, s22
	v_addc_co_u32_e32 v10, vcc, v10, v9, vcc
	s_lshl_b64 s[2:3], s[20:21], 3
	s_lshl_b64 s[44:45], s[44:45], 3
	v_add_co_u32_e32 v9, vcc, 4, v0
	s_sub_u32 s24, s2, s44
	v_addc_co_u32_e32 v10, vcc, 0, v10, vcc
	s_subb_u32 s46, s3, s45
	s_mov_b64 s[44:45], 0
.LBB8_74:                               ; =>This Inner Loop Header: Depth=1
	global_load_dwordx2 v[12:13], v[9:10], off offset:-4
	v_add_co_u32_e32 v3, vcc, 1, v3
	v_addc_co_u32_e32 v4, vcc, 0, v4, vcc
	v_cmp_ge_i64_e64 s[2:3], v[3:4], v[5:6]
	v_mov_b32_e32 v0, s46
	v_add_co_u32_e32 v9, vcc, s24, v9
	v_addc_co_u32_e32 v10, vcc, v10, v0, vcc
	s_or_b64 s[44:45], s[2:3], s[44:45]
	s_waitcnt vmcnt(0)
	v_add_f32_e32 v7, v7, v12
	v_add_f32_e32 v8, v8, v13
	global_store_dwordx2 v[1:2], v[7:8], off
	s_andn2_b64 exec, exec, s[44:45]
	s_cbranch_execnz .LBB8_74
.LBB8_75:
	s_or_b64 exec, exec, s[42:43]
	v_add_u32_e32 v11, 0x100, v11
	s_or_b64 exec, exec, s[18:19]
	v_cmp_gt_i32_e32 vcc, s51, v11
	s_and_saveexec_b64 s[2:3], vcc
	s_cbranch_execz .LBB8_99
.LBB8_76:
	s_and_b64 vcc, exec, s[0:1]
	s_cbranch_vccnz .LBB8_83
; %bb.77:
	v_mov_b32_e32 v2, 0
	s_andn2_b64 vcc, exec, s[40:41]
	v_mov_b32_e32 v0, 0
	v_mov_b32_e32 v4, 0
	s_cbranch_vccnz .LBB8_82
; %bb.78:
	s_add_i32 s0, s31, 1
	s_and_b32 s2, s0, 30
	s_add_u32 s0, s33, 0xffffffe8
	s_addc_u32 s1, s50, -1
	v_mov_b32_e32 v4, 0
	v_mov_b32_e32 v0, 0
	v_mov_b32_e32 v2, 0
	v_mov_b32_e32 v1, v11
.LBB8_79:                               ; =>This Inner Loop Header: Depth=1
	s_load_dwordx4 s[40:43], s[0:1], 0x1c
	s_load_dwordx2 s[18:19], s[0:1], 0x2c
	s_load_dwordx2 s[48:49], s[0:1], 0xec
	s_load_dwordx4 s[44:47], s[0:1], 0xdc
	s_add_u32 s0, s0, 24
	s_waitcnt lgkmcnt(0)
	v_mul_hi_u32 v3, s41, v1
	s_addc_u32 s1, s1, 0
	s_add_i32 s2, s2, -2
	s_cmp_eq_u32 s2, 0
	v_add_u32_e32 v3, v1, v3
	v_lshrrev_b32_e32 v3, s42, v3
	v_mul_lo_u32 v5, v3, s40
	v_mul_hi_u32 v6, s18, v3
	v_sub_u32_e32 v5, v1, v5
	v_add_u32_e32 v1, v3, v6
	v_lshrrev_b32_e32 v1, s19, v1
	v_mul_lo_u32 v8, v1, s43
	v_mul_lo_u32 v6, v5, s44
	v_mul_lo_u32 v7, v5, s45
	v_mul_lo_u32 v5, v5, s46
	v_sub_u32_e32 v3, v3, v8
	v_mul_lo_u32 v8, v3, s47
	v_mul_lo_u32 v9, v3, s48
	;; [unrolled: 1-line block ×3, first 2 shown]
	v_add3_u32 v2, v6, v2, v8
	v_add3_u32 v0, v7, v0, v9
	;; [unrolled: 1-line block ×3, first 2 shown]
	s_cbranch_scc0 .LBB8_79
; %bb.80:
	s_bitcmp1_b32 s31, 0
	s_cselect_b64 s[2:3], -1, 0
	s_and_b64 vcc, exec, s[2:3]
	s_cbranch_vccnz .LBB8_82
; %bb.81:
	s_load_dwordx2 s[2:3], s[0:1], 0x1c
	s_load_dword s24, s[0:1], 0x24
	s_load_dwordx2 s[18:19], s[0:1], 0xdc
	s_waitcnt lgkmcnt(0)
	v_mul_hi_u32 v3, s3, v1
	v_add_u32_e32 v3, v1, v3
	v_lshrrev_b32_e32 v3, s24, v3
	v_mul_lo_u32 v3, v3, s2
	s_load_dword s2, s[0:1], 0xe4
	v_sub_u32_e32 v5, v1, v3
	v_mad_u64_u32 v[2:3], s[0:1], v5, s18, v[2:3]
	v_mad_u64_u32 v[0:1], s[0:1], v5, s19, v[0:1]
	s_waitcnt lgkmcnt(0)
	v_mad_u64_u32 v[4:5], s[0:1], v5, s2, v[4:5]
.LBB8_82:
	s_cbranch_execz .LBB8_84
	s_branch .LBB8_86
.LBB8_83:
                                        ; implicit-def: $vgpr2
                                        ; implicit-def: $vgpr0
                                        ; implicit-def: $vgpr4
.LBB8_84:
	v_mul_hi_u32 v0, s26, v11
	s_andn2_b64 vcc, exec, s[34:35]
	v_add_u32_e32 v0, v11, v0
	v_lshrrev_b32_e32 v1, s27, v0
	v_mul_lo_u32 v0, v1, s25
	v_sub_u32_e32 v3, v11, v0
	v_mul_lo_u32 v2, v3, s36
	v_mul_lo_u32 v0, v3, s37
	;; [unrolled: 1-line block ×3, first 2 shown]
	s_cbranch_vccnz .LBB8_86
; %bb.85:
	v_mul_hi_u32 v3, s29, v1
	v_add_u32_e32 v3, v1, v3
	v_lshrrev_b32_e32 v3, s30, v3
	v_mul_lo_u32 v3, v3, s28
	v_sub_u32_e32 v5, v1, v3
	v_mad_u64_u32 v[2:3], s[0:1], v5, s39, v[2:3]
	v_mad_u64_u32 v[0:1], s[0:1], v5, s6, v[0:1]
	;; [unrolled: 1-line block ×3, first 2 shown]
.LBB8_86:
	global_load_dwordx2 v[3:4], v4, s[12:13]
	v_mov_b32_e32 v5, 0
	v_mov_b32_e32 v6, 0
	s_waitcnt vmcnt(0)
	v_cmp_lt_i64_e32 vcc, s[14:15], v[3:4]
	s_and_saveexec_b64 s[2:3], vcc
	s_cbranch_execz .LBB8_92
; %bb.87:
	v_mov_b32_e32 v5, s15
	v_subrev_co_u32_e32 v1, vcc, s14, v3
	v_subb_co_u32_e32 v7, vcc, v4, v5, vcc
	v_or_b32_e32 v6, s17, v7
	v_mov_b32_e32 v5, 0
	v_cmp_ne_u64_e32 vcc, 0, v[5:6]
                                        ; implicit-def: $vgpr5_vgpr6
	s_and_saveexec_b64 s[0:1], vcc
	s_xor_b64 s[6:7], exec, s[0:1]
	s_cbranch_execz .LBB8_89
; %bb.88:
	s_ashr_i32 s12, s17, 31
	s_add_u32 s0, s16, s12
	s_mov_b32 s13, s12
	s_addc_u32 s1, s17, s12
	s_xor_b64 s[18:19], s[0:1], s[12:13]
	v_cvt_f32_u32_e32 v5, s18
	v_cvt_f32_u32_e32 v6, s19
	s_sub_u32 s13, 0, s18
	s_subb_u32 s24, 0, s19
	v_ashrrev_i32_e32 v9, 31, v7
	v_madmk_f32 v5, v6, 0x4f800000, v5
	v_rcp_f32_e32 v5, v5
	v_add_co_u32_e32 v1, vcc, v1, v9
	v_xor_b32_e32 v1, v1, v9
	v_mul_f32_e32 v5, 0x5f7ffffc, v5
	v_mul_f32_e32 v6, 0x2f800000, v5
	v_trunc_f32_e32 v6, v6
	v_madmk_f32 v5, v6, 0xcf800000, v5
	v_cvt_u32_f32_e32 v6, v6
	v_cvt_u32_f32_e32 v5, v5
	v_addc_co_u32_e32 v7, vcc, v7, v9, vcc
	v_readfirstlane_b32 s25, v6
	v_readfirstlane_b32 s0, v5
	s_mul_i32 s1, s13, s25
	s_mul_hi_u32 s27, s13, s0
	s_mul_i32 s26, s24, s0
	s_add_i32 s1, s27, s1
	s_add_i32 s1, s1, s26
	s_mul_i32 s28, s13, s0
	s_mul_i32 s27, s0, s1
	s_mul_hi_u32 s29, s0, s28
	s_mul_hi_u32 s26, s0, s1
	s_add_u32 s27, s29, s27
	s_addc_u32 s26, 0, s26
	s_mul_hi_u32 s30, s25, s28
	s_mul_i32 s28, s25, s28
	s_add_u32 s27, s27, s28
	s_mul_hi_u32 s29, s25, s1
	s_addc_u32 s26, s26, s30
	s_addc_u32 s27, s29, 0
	s_mul_i32 s1, s25, s1
	s_add_u32 s1, s26, s1
	s_addc_u32 s26, 0, s27
	s_add_u32 s27, s0, s1
	s_cselect_b64 s[0:1], -1, 0
	s_cmp_lg_u64 s[0:1], 0
	s_addc_u32 s25, s25, s26
	s_mul_i32 s0, s13, s25
	s_mul_hi_u32 s1, s13, s27
	s_add_i32 s0, s1, s0
	s_mul_i32 s24, s24, s27
	s_add_i32 s0, s0, s24
	s_mul_i32 s13, s13, s27
	s_mul_hi_u32 s24, s25, s13
	s_mul_i32 s26, s25, s13
	s_mul_i32 s29, s27, s0
	s_mul_hi_u32 s13, s27, s13
	s_mul_hi_u32 s28, s27, s0
	s_add_u32 s13, s13, s29
	s_addc_u32 s28, 0, s28
	s_add_u32 s13, s13, s26
	s_mul_hi_u32 s1, s25, s0
	s_addc_u32 s13, s28, s24
	s_addc_u32 s1, s1, 0
	s_mul_i32 s0, s25, s0
	s_add_u32 s0, s13, s0
	s_addc_u32 s13, 0, s1
	s_add_u32 s24, s27, s0
	s_cselect_b64 s[0:1], -1, 0
	s_cmp_lg_u64 s[0:1], 0
	s_addc_u32 s13, s25, s13
	v_mad_u64_u32 v[5:6], s[0:1], v1, s13, 0
	v_mul_hi_u32 v8, v1, s24
	v_xor_b32_e32 v10, v7, v9
	v_add_co_u32_e32 v11, vcc, v8, v5
	v_addc_co_u32_e32 v12, vcc, 0, v6, vcc
	v_mad_u64_u32 v[5:6], s[0:1], v10, s24, 0
	v_mad_u64_u32 v[7:8], s[0:1], v10, s13, 0
	v_add_co_u32_e32 v5, vcc, v11, v5
	v_addc_co_u32_e32 v5, vcc, v12, v6, vcc
	v_addc_co_u32_e32 v6, vcc, 0, v8, vcc
	v_add_co_u32_e32 v7, vcc, v5, v7
	v_addc_co_u32_e32 v8, vcc, 0, v6, vcc
	v_mul_lo_u32 v11, s19, v7
	v_mul_lo_u32 v12, s18, v8
	v_mad_u64_u32 v[5:6], s[0:1], s18, v7, 0
	v_add3_u32 v6, v6, v12, v11
	v_sub_u32_e32 v11, v10, v6
	v_mov_b32_e32 v12, s19
	v_sub_co_u32_e32 v1, vcc, v1, v5
	v_subb_co_u32_e64 v5, s[0:1], v11, v12, vcc
	v_subrev_co_u32_e64 v11, s[0:1], s18, v1
	v_subbrev_co_u32_e64 v5, s[0:1], 0, v5, s[0:1]
	v_cmp_le_u32_e64 s[0:1], s19, v5
	v_cndmask_b32_e64 v12, 0, -1, s[0:1]
	v_cmp_le_u32_e64 s[0:1], s18, v11
	v_cndmask_b32_e64 v11, 0, -1, s[0:1]
	v_cmp_eq_u32_e64 s[0:1], s19, v5
	v_cndmask_b32_e64 v5, v12, v11, s[0:1]
	v_add_co_u32_e64 v11, s[0:1], 2, v7
	v_subb_co_u32_e32 v6, vcc, v10, v6, vcc
	v_addc_co_u32_e64 v12, s[0:1], 0, v8, s[0:1]
	v_cmp_le_u32_e32 vcc, s19, v6
	v_add_co_u32_e64 v13, s[0:1], 1, v7
	v_cndmask_b32_e64 v10, 0, -1, vcc
	v_cmp_le_u32_e32 vcc, s18, v1
	v_addc_co_u32_e64 v14, s[0:1], 0, v8, s[0:1]
	v_cndmask_b32_e64 v1, 0, -1, vcc
	v_cmp_eq_u32_e32 vcc, s19, v6
	v_cmp_ne_u32_e64 s[0:1], 0, v5
	v_cndmask_b32_e32 v1, v10, v1, vcc
	v_cndmask_b32_e64 v5, v14, v12, s[0:1]
	v_cmp_ne_u32_e32 vcc, 0, v1
	v_cndmask_b32_e32 v1, v8, v5, vcc
	v_cndmask_b32_e64 v5, v13, v11, s[0:1]
	v_cndmask_b32_e32 v5, v7, v5, vcc
	v_xor_b32_e32 v6, s12, v9
	v_xor_b32_e32 v5, v5, v6
	;; [unrolled: 1-line block ×3, first 2 shown]
	v_sub_co_u32_e32 v5, vcc, v5, v6
	v_subb_co_u32_e32 v6, vcc, v1, v6, vcc
                                        ; implicit-def: $vgpr1
.LBB8_89:
	s_andn2_saveexec_b64 s[0:1], s[6:7]
	s_cbranch_execz .LBB8_91
; %bb.90:
	v_cvt_f32_u32_e32 v5, s16
	s_sub_i32 s6, 0, s16
	v_rcp_iflag_f32_e32 v5, v5
	v_mul_f32_e32 v5, 0x4f7ffffe, v5
	v_cvt_u32_f32_e32 v5, v5
	v_mul_lo_u32 v6, s6, v5
	v_mul_hi_u32 v6, v5, v6
	v_add_u32_e32 v5, v5, v6
	v_mul_hi_u32 v5, v1, v5
	v_mul_lo_u32 v6, v5, s16
	v_add_u32_e32 v7, 1, v5
	v_sub_u32_e32 v1, v1, v6
	v_subrev_u32_e32 v6, s16, v1
	v_cmp_le_u32_e32 vcc, s16, v1
	v_cndmask_b32_e32 v1, v1, v6, vcc
	v_cndmask_b32_e32 v5, v5, v7, vcc
	v_add_u32_e32 v6, 1, v5
	v_cmp_le_u32_e32 vcc, s16, v1
	v_cndmask_b32_e32 v5, v5, v6, vcc
	v_mov_b32_e32 v6, 0
.LBB8_91:
	s_or_b64 exec, exec, s[0:1]
.LBB8_92:
	s_or_b64 exec, exec, s[2:3]
	v_or_b32_e32 v8, s17, v4
	v_mov_b32_e32 v7, 0
	v_cmp_ne_u64_e32 vcc, 0, v[7:8]
                                        ; implicit-def: $vgpr7_vgpr8
	s_and_saveexec_b64 s[0:1], vcc
	s_xor_b64 s[2:3], exec, s[0:1]
	s_cbranch_execz .LBB8_94
; %bb.93:
	s_ashr_i32 s6, s17, 31
	s_add_u32 s0, s16, s6
	s_mov_b32 s7, s6
	s_addc_u32 s1, s17, s6
	s_xor_b64 s[12:13], s[0:1], s[6:7]
	v_cvt_f32_u32_e32 v1, s12
	v_cvt_f32_u32_e32 v7, s13
	s_sub_u32 s7, 0, s12
	s_subb_u32 s18, 0, s13
	v_madmk_f32 v1, v7, 0x4f800000, v1
	v_rcp_f32_e32 v1, v1
	v_mul_f32_e32 v1, 0x5f7ffffc, v1
	v_mul_f32_e32 v7, 0x2f800000, v1
	v_trunc_f32_e32 v7, v7
	v_madmk_f32 v1, v7, 0xcf800000, v1
	v_cvt_u32_f32_e32 v7, v7
	v_cvt_u32_f32_e32 v1, v1
	v_readfirstlane_b32 s19, v7
	v_readfirstlane_b32 s0, v1
	s_mul_i32 s1, s7, s19
	s_mul_hi_u32 s25, s7, s0
	s_mul_i32 s24, s18, s0
	s_add_i32 s1, s25, s1
	s_add_i32 s1, s1, s24
	s_mul_i32 s26, s7, s0
	s_mul_i32 s25, s0, s1
	s_mul_hi_u32 s27, s0, s26
	s_mul_hi_u32 s24, s0, s1
	s_add_u32 s25, s27, s25
	s_addc_u32 s24, 0, s24
	s_mul_hi_u32 s28, s19, s26
	s_mul_i32 s26, s19, s26
	s_add_u32 s25, s25, s26
	s_mul_hi_u32 s27, s19, s1
	s_addc_u32 s24, s24, s28
	s_addc_u32 s25, s27, 0
	s_mul_i32 s1, s19, s1
	s_add_u32 s1, s24, s1
	s_addc_u32 s24, 0, s25
	s_add_u32 s25, s0, s1
	s_cselect_b64 s[0:1], -1, 0
	s_cmp_lg_u64 s[0:1], 0
	s_addc_u32 s19, s19, s24
	s_mul_i32 s0, s7, s19
	s_mul_hi_u32 s1, s7, s25
	s_add_i32 s0, s1, s0
	s_mul_i32 s18, s18, s25
	s_add_i32 s0, s0, s18
	s_mul_i32 s7, s7, s25
	s_mul_hi_u32 s18, s19, s7
	s_mul_i32 s24, s19, s7
	s_mul_i32 s27, s25, s0
	s_mul_hi_u32 s7, s25, s7
	s_mul_hi_u32 s26, s25, s0
	s_add_u32 s7, s7, s27
	s_addc_u32 s26, 0, s26
	s_add_u32 s7, s7, s24
	s_mul_hi_u32 s1, s19, s0
	s_addc_u32 s7, s26, s18
	s_addc_u32 s1, s1, 0
	s_mul_i32 s0, s19, s0
	s_add_u32 s0, s7, s0
	s_addc_u32 s7, 0, s1
	s_add_u32 s18, s25, s0
	s_cselect_b64 s[0:1], -1, 0
	v_ashrrev_i32_e32 v1, 31, v4
	s_cmp_lg_u64 s[0:1], 0
	v_add_co_u32_e32 v7, vcc, v3, v1
	s_addc_u32 s7, s19, s7
	v_xor_b32_e32 v11, v7, v1
	v_mad_u64_u32 v[7:8], s[0:1], v11, s7, 0
	v_mul_hi_u32 v10, v11, s18
	v_addc_co_u32_e32 v9, vcc, v4, v1, vcc
	v_xor_b32_e32 v12, v9, v1
	v_add_co_u32_e32 v13, vcc, v10, v7
	v_addc_co_u32_e32 v14, vcc, 0, v8, vcc
	v_mad_u64_u32 v[7:8], s[0:1], v12, s18, 0
	v_mad_u64_u32 v[9:10], s[0:1], v12, s7, 0
	v_add_co_u32_e32 v7, vcc, v13, v7
	v_addc_co_u32_e32 v7, vcc, v14, v8, vcc
	v_addc_co_u32_e32 v8, vcc, 0, v10, vcc
	v_add_co_u32_e32 v9, vcc, v7, v9
	v_addc_co_u32_e32 v10, vcc, 0, v8, vcc
	v_mul_lo_u32 v13, s13, v9
	v_mul_lo_u32 v14, s12, v10
	v_mad_u64_u32 v[7:8], s[0:1], s12, v9, 0
	v_xor_b32_e32 v1, s6, v1
	v_add3_u32 v8, v8, v14, v13
	v_sub_u32_e32 v13, v12, v8
	v_mov_b32_e32 v14, s13
	v_sub_co_u32_e32 v7, vcc, v11, v7
	v_subb_co_u32_e64 v11, s[0:1], v13, v14, vcc
	v_subrev_co_u32_e64 v13, s[0:1], s12, v7
	v_subbrev_co_u32_e64 v11, s[0:1], 0, v11, s[0:1]
	v_cmp_le_u32_e64 s[0:1], s13, v11
	v_cndmask_b32_e64 v14, 0, -1, s[0:1]
	v_cmp_le_u32_e64 s[0:1], s12, v13
	v_cndmask_b32_e64 v13, 0, -1, s[0:1]
	v_cmp_eq_u32_e64 s[0:1], s13, v11
	v_cndmask_b32_e64 v11, v14, v13, s[0:1]
	v_add_co_u32_e64 v13, s[0:1], 2, v9
	v_subb_co_u32_e32 v8, vcc, v12, v8, vcc
	v_addc_co_u32_e64 v14, s[0:1], 0, v10, s[0:1]
	v_cmp_le_u32_e32 vcc, s13, v8
	v_add_co_u32_e64 v15, s[0:1], 1, v9
	v_cndmask_b32_e64 v12, 0, -1, vcc
	v_cmp_le_u32_e32 vcc, s12, v7
	v_addc_co_u32_e64 v16, s[0:1], 0, v10, s[0:1]
	v_cndmask_b32_e64 v7, 0, -1, vcc
	v_cmp_eq_u32_e32 vcc, s13, v8
	v_cmp_ne_u32_e64 s[0:1], 0, v11
	v_cndmask_b32_e32 v7, v12, v7, vcc
	v_cndmask_b32_e64 v11, v16, v14, s[0:1]
	v_cmp_ne_u32_e32 vcc, 0, v7
	v_cndmask_b32_e64 v8, v15, v13, s[0:1]
	v_cndmask_b32_e32 v7, v10, v11, vcc
	v_cndmask_b32_e32 v8, v9, v8, vcc
	v_xor_b32_e32 v9, v7, v1
	v_xor_b32_e32 v7, v8, v1
	v_sub_co_u32_e32 v7, vcc, v7, v1
	v_subb_co_u32_e32 v8, vcc, v9, v1, vcc
.LBB8_94:
	s_andn2_saveexec_b64 s[0:1], s[2:3]
	s_cbranch_execz .LBB8_96
; %bb.95:
	v_cvt_f32_u32_e32 v1, s16
	s_sub_i32 s2, 0, s16
	v_rcp_iflag_f32_e32 v1, v1
	v_mul_f32_e32 v1, 0x4f7ffffe, v1
	v_cvt_u32_f32_e32 v1, v1
	v_mul_lo_u32 v7, s2, v1
	v_mul_hi_u32 v7, v1, v7
	v_add_u32_e32 v1, v1, v7
	v_mul_hi_u32 v1, v3, v1
	v_mul_lo_u32 v7, v1, s16
	v_add_u32_e32 v8, 1, v1
	v_sub_u32_e32 v7, v3, v7
	v_subrev_u32_e32 v9, s16, v7
	v_cmp_le_u32_e32 vcc, s16, v7
	v_cndmask_b32_e32 v7, v7, v9, vcc
	v_cndmask_b32_e32 v1, v1, v8, vcc
	v_add_u32_e32 v8, 1, v1
	v_cmp_le_u32_e32 vcc, s16, v7
	v_cndmask_b32_e32 v7, v1, v8, vcc
	v_mov_b32_e32 v8, 0
.LBB8_96:
	s_or_b64 exec, exec, s[0:1]
	v_mul_lo_u32 v1, v6, s16
	v_mul_lo_u32 v11, v5, s17
	v_mad_u64_u32 v[9:10], s[0:1], v5, s16, 0
	v_add3_u32 v10, v10, v11, v1
	v_cmp_gt_i64_e32 vcc, v[9:10], v[3:4]
	v_mov_b32_e32 v1, s15
	v_add_co_u32_e64 v9, s[0:1], s14, v9
	v_addc_co_u32_e64 v10, s[0:1], v10, v1, s[0:1]
	v_cmp_ge_i64_e64 s[0:1], v[3:4], v[9:10]
	s_or_b64 s[0:1], vcc, s[0:1]
	v_cndmask_b32_e64 v1, 0, 1, s[0:1]
	v_add_co_u32_e32 v9, vcc, v5, v1
	v_addc_co_u32_e32 v10, vcc, 0, v6, vcc
	v_cmp_gt_i64_e32 vcc, s[4:5], v[7:8]
	v_mov_b32_e32 v1, s5
	v_cndmask_b32_e32 v6, v1, v8, vcc
	v_mov_b32_e32 v1, s4
	v_cndmask_b32_e32 v5, v1, v7, vcc
	v_cmp_le_i64_e32 vcc, v[9:10], v[5:6]
	s_and_b64 exec, exec, vcc
	s_cbranch_execz .LBB8_99
; %bb.97:
	global_load_dwordx2 v[7:8], v2, s[8:9]
	v_mul_lo_u32 v14, s17, v9
	v_mul_lo_u32 v15, s16, v10
	v_mad_u64_u32 v[11:12], s[0:1], s16, v9, 0
	v_mov_b32_e32 v13, s9
	v_add_co_u32_e32 v1, vcc, s8, v2
	v_addc_co_u32_e32 v2, vcc, 0, v13, vcc
	v_add3_u32 v12, v12, v15, v14
	v_sub_co_u32_e32 v3, vcc, v3, v11
	v_subb_co_u32_e32 v4, vcc, v4, v12, vcc
	v_mul_lo_u32 v15, s23, v3
	v_mul_lo_u32 v16, s22, v4
	v_mad_u64_u32 v[11:12], s[0:1], s22, v3, 0
	v_mul_lo_u32 v17, s21, v9
	v_mul_lo_u32 v18, s20, v10
	v_mad_u64_u32 v[13:14], s[0:1], s20, v9, 0
	v_add_co_u32_e32 v3, vcc, -1, v9
	v_add3_u32 v12, v12, v16, v15
	v_add3_u32 v14, v14, v18, v17
	v_addc_co_u32_e32 v4, vcc, -1, v10, vcc
	v_lshlrev_b64 v[9:10], 3, v[11:12]
	v_lshlrev_b64 v[11:12], 3, v[13:14]
	s_mul_i32 s2, s16, s23
	v_add_co_u32_e32 v9, vcc, v9, v11
	v_addc_co_u32_e32 v10, vcc, v10, v12, vcc
	v_add_co_u32_e32 v0, vcc, v9, v0
	s_mul_hi_u32 s3, s16, s22
	v_addc_co_u32_e32 v9, vcc, 0, v10, vcc
	s_add_i32 s2, s3, s2
	s_mul_i32 s3, s17, s22
	v_mov_b32_e32 v10, s11
	v_add_co_u32_e32 v0, vcc, s10, v0
	s_add_i32 s3, s2, s3
	s_mul_i32 s2, s16, s22
	v_addc_co_u32_e32 v10, vcc, v10, v9, vcc
	s_lshl_b64 s[0:1], s[20:21], 3
	s_lshl_b64 s[2:3], s[2:3], 3
	v_add_co_u32_e32 v9, vcc, 4, v0
	s_sub_u32 s4, s0, s2
	v_addc_co_u32_e32 v10, vcc, 0, v10, vcc
	s_subb_u32 s5, s1, s3
	s_mov_b64 s[2:3], 0
.LBB8_98:                               ; =>This Inner Loop Header: Depth=1
	global_load_dwordx2 v[11:12], v[9:10], off offset:-4
	v_add_co_u32_e32 v3, vcc, 1, v3
	v_addc_co_u32_e32 v4, vcc, 0, v4, vcc
	v_cmp_ge_i64_e64 s[0:1], v[3:4], v[5:6]
	v_mov_b32_e32 v0, s5
	v_add_co_u32_e32 v9, vcc, s4, v9
	v_addc_co_u32_e32 v10, vcc, v10, v0, vcc
	s_or_b64 s[2:3], s[0:1], s[2:3]
	s_waitcnt vmcnt(0)
	v_add_f32_e32 v7, v7, v11
	v_add_f32_e32 v8, v8, v12
	global_store_dwordx2 v[1:2], v[7:8], off
	s_andn2_b64 exec, exec, s[2:3]
	s_cbranch_execnz .LBB8_98
.LBB8_99:
	s_endpgm
	.section	.rodata,"a",@progbits
	.p2align	6, 0x0
	.amdhsa_kernel _ZN2at6native12_GLOBAL__N_135_unfold_backward_elementwise_kernelILi256ELi4EZNS1_32_unfold_backward_internal_kernelIN3c107complexIfEEEEvRNS_14TensorIteratorEllllllEUliE_EEviT1_
		.amdhsa_group_segment_fixed_size 0
		.amdhsa_private_segment_fixed_size 0
		.amdhsa_kernarg_size 464
		.amdhsa_user_sgpr_count 6
		.amdhsa_user_sgpr_private_segment_buffer 1
		.amdhsa_user_sgpr_dispatch_ptr 0
		.amdhsa_user_sgpr_queue_ptr 0
		.amdhsa_user_sgpr_kernarg_segment_ptr 1
		.amdhsa_user_sgpr_dispatch_id 0
		.amdhsa_user_sgpr_flat_scratch_init 0
		.amdhsa_user_sgpr_private_segment_size 0
		.amdhsa_uses_dynamic_stack 0
		.amdhsa_system_sgpr_private_segment_wavefront_offset 0
		.amdhsa_system_sgpr_workgroup_id_x 1
		.amdhsa_system_sgpr_workgroup_id_y 0
		.amdhsa_system_sgpr_workgroup_id_z 0
		.amdhsa_system_sgpr_workgroup_info 0
		.amdhsa_system_vgpr_workitem_id 0
		.amdhsa_next_free_vgpr 20
		.amdhsa_next_free_sgpr 58
		.amdhsa_reserve_vcc 1
		.amdhsa_reserve_flat_scratch 0
		.amdhsa_float_round_mode_32 0
		.amdhsa_float_round_mode_16_64 0
		.amdhsa_float_denorm_mode_32 3
		.amdhsa_float_denorm_mode_16_64 3
		.amdhsa_dx10_clamp 1
		.amdhsa_ieee_mode 1
		.amdhsa_fp16_overflow 0
		.amdhsa_exception_fp_ieee_invalid_op 0
		.amdhsa_exception_fp_denorm_src 0
		.amdhsa_exception_fp_ieee_div_zero 0
		.amdhsa_exception_fp_ieee_overflow 0
		.amdhsa_exception_fp_ieee_underflow 0
		.amdhsa_exception_fp_ieee_inexact 0
		.amdhsa_exception_int_div_zero 0
	.end_amdhsa_kernel
	.section	.text._ZN2at6native12_GLOBAL__N_135_unfold_backward_elementwise_kernelILi256ELi4EZNS1_32_unfold_backward_internal_kernelIN3c107complexIfEEEEvRNS_14TensorIteratorEllllllEUliE_EEviT1_,"axG",@progbits,_ZN2at6native12_GLOBAL__N_135_unfold_backward_elementwise_kernelILi256ELi4EZNS1_32_unfold_backward_internal_kernelIN3c107complexIfEEEEvRNS_14TensorIteratorEllllllEUliE_EEviT1_,comdat
.Lfunc_end8:
	.size	_ZN2at6native12_GLOBAL__N_135_unfold_backward_elementwise_kernelILi256ELi4EZNS1_32_unfold_backward_internal_kernelIN3c107complexIfEEEEvRNS_14TensorIteratorEllllllEUliE_EEviT1_, .Lfunc_end8-_ZN2at6native12_GLOBAL__N_135_unfold_backward_elementwise_kernelILi256ELi4EZNS1_32_unfold_backward_internal_kernelIN3c107complexIfEEEEvRNS_14TensorIteratorEllllllEUliE_EEviT1_
                                        ; -- End function
	.set _ZN2at6native12_GLOBAL__N_135_unfold_backward_elementwise_kernelILi256ELi4EZNS1_32_unfold_backward_internal_kernelIN3c107complexIfEEEEvRNS_14TensorIteratorEllllllEUliE_EEviT1_.num_vgpr, 20
	.set _ZN2at6native12_GLOBAL__N_135_unfold_backward_elementwise_kernelILi256ELi4EZNS1_32_unfold_backward_internal_kernelIN3c107complexIfEEEEvRNS_14TensorIteratorEllllllEUliE_EEviT1_.num_agpr, 0
	.set _ZN2at6native12_GLOBAL__N_135_unfold_backward_elementwise_kernelILi256ELi4EZNS1_32_unfold_backward_internal_kernelIN3c107complexIfEEEEvRNS_14TensorIteratorEllllllEUliE_EEviT1_.numbered_sgpr, 58
	.set _ZN2at6native12_GLOBAL__N_135_unfold_backward_elementwise_kernelILi256ELi4EZNS1_32_unfold_backward_internal_kernelIN3c107complexIfEEEEvRNS_14TensorIteratorEllllllEUliE_EEviT1_.num_named_barrier, 0
	.set _ZN2at6native12_GLOBAL__N_135_unfold_backward_elementwise_kernelILi256ELi4EZNS1_32_unfold_backward_internal_kernelIN3c107complexIfEEEEvRNS_14TensorIteratorEllllllEUliE_EEviT1_.private_seg_size, 0
	.set _ZN2at6native12_GLOBAL__N_135_unfold_backward_elementwise_kernelILi256ELi4EZNS1_32_unfold_backward_internal_kernelIN3c107complexIfEEEEvRNS_14TensorIteratorEllllllEUliE_EEviT1_.uses_vcc, 1
	.set _ZN2at6native12_GLOBAL__N_135_unfold_backward_elementwise_kernelILi256ELi4EZNS1_32_unfold_backward_internal_kernelIN3c107complexIfEEEEvRNS_14TensorIteratorEllllllEUliE_EEviT1_.uses_flat_scratch, 0
	.set _ZN2at6native12_GLOBAL__N_135_unfold_backward_elementwise_kernelILi256ELi4EZNS1_32_unfold_backward_internal_kernelIN3c107complexIfEEEEvRNS_14TensorIteratorEllllllEUliE_EEviT1_.has_dyn_sized_stack, 0
	.set _ZN2at6native12_GLOBAL__N_135_unfold_backward_elementwise_kernelILi256ELi4EZNS1_32_unfold_backward_internal_kernelIN3c107complexIfEEEEvRNS_14TensorIteratorEllllllEUliE_EEviT1_.has_recursion, 0
	.set _ZN2at6native12_GLOBAL__N_135_unfold_backward_elementwise_kernelILi256ELi4EZNS1_32_unfold_backward_internal_kernelIN3c107complexIfEEEEvRNS_14TensorIteratorEllllllEUliE_EEviT1_.has_indirect_call, 0
	.section	.AMDGPU.csdata,"",@progbits
; Kernel info:
; codeLenInByte = 10008
; TotalNumSgprs: 62
; NumVgprs: 20
; ScratchSize: 0
; MemoryBound: 0
; FloatMode: 240
; IeeeMode: 1
; LDSByteSize: 0 bytes/workgroup (compile time only)
; SGPRBlocks: 7
; VGPRBlocks: 4
; NumSGPRsForWavesPerEU: 62
; NumVGPRsForWavesPerEU: 20
; Occupancy: 10
; WaveLimiterHint : 1
; COMPUTE_PGM_RSRC2:SCRATCH_EN: 0
; COMPUTE_PGM_RSRC2:USER_SGPR: 6
; COMPUTE_PGM_RSRC2:TRAP_HANDLER: 0
; COMPUTE_PGM_RSRC2:TGID_X_EN: 1
; COMPUTE_PGM_RSRC2:TGID_Y_EN: 0
; COMPUTE_PGM_RSRC2:TGID_Z_EN: 0
; COMPUTE_PGM_RSRC2:TIDIG_COMP_CNT: 0
	.section	.text._ZN2at6native12_GLOBAL__N_135_unfold_backward_elementwise_kernelILi256ELi4EZNS1_32_unfold_backward_internal_kernelIN3c104HalfEEEvRNS_14TensorIteratorEllllllEUliE_EEviT1_,"axG",@progbits,_ZN2at6native12_GLOBAL__N_135_unfold_backward_elementwise_kernelILi256ELi4EZNS1_32_unfold_backward_internal_kernelIN3c104HalfEEEvRNS_14TensorIteratorEllllllEUliE_EEviT1_,comdat
	.globl	_ZN2at6native12_GLOBAL__N_135_unfold_backward_elementwise_kernelILi256ELi4EZNS1_32_unfold_backward_internal_kernelIN3c104HalfEEEvRNS_14TensorIteratorEllllllEUliE_EEviT1_ ; -- Begin function _ZN2at6native12_GLOBAL__N_135_unfold_backward_elementwise_kernelILi256ELi4EZNS1_32_unfold_backward_internal_kernelIN3c104HalfEEEvRNS_14TensorIteratorEllllllEUliE_EEviT1_
	.p2align	8
	.type	_ZN2at6native12_GLOBAL__N_135_unfold_backward_elementwise_kernelILi256ELi4EZNS1_32_unfold_backward_internal_kernelIN3c104HalfEEEvRNS_14TensorIteratorEllllllEUliE_EEviT1_,@function
_ZN2at6native12_GLOBAL__N_135_unfold_backward_elementwise_kernelILi256ELi4EZNS1_32_unfold_backward_internal_kernelIN3c104HalfEEEvRNS_14TensorIteratorEllllllEUliE_EEviT1_: ; @_ZN2at6native12_GLOBAL__N_135_unfold_backward_elementwise_kernelILi256ELi4EZNS1_32_unfold_backward_internal_kernelIN3c104HalfEEEvRNS_14TensorIteratorEllllllEUliE_EEviT1_
; %bb.0:
	s_load_dword s51, s[4:5], 0x0
	s_load_dwordx8 s[24:31], s[4:5], 0x8
	s_add_u32 s33, s4, 8
	v_lshl_or_b32 v11, s6, 10, v0
	s_addc_u32 s50, s5, 0
	s_load_dwordx16 s[8:23], s[4:5], 0x190
	s_load_dwordx4 s[36:39], s[4:5], 0xcc
	s_load_dwordx2 s[6:7], s[4:5], 0xdc
	s_waitcnt lgkmcnt(0)
	v_sub_co_u32_e64 v0, s[0:1], s24, 1
	s_xor_b64 s[40:41], s[0:1], -1
	v_readfirstlane_b32 s0, v0
	s_min_u32 s31, s0, 15
	s_cmp_gt_u32 s24, 1
	v_cmp_lt_u32_e64 s[0:1], 1, v0
	s_cselect_b64 s[34:35], -1, 0
	s_add_u32 s4, s18, -1
	v_cndmask_b32_e64 v0, 0, 1, s[0:1]
	s_mov_b64 s[2:3], -1
	s_addc_u32 s5, s19, -1
	v_cmp_gt_i32_e32 vcc, s51, v11
	v_cmp_ne_u32_e64 s[0:1], 1, v0
	s_and_saveexec_b64 s[18:19], vcc
	s_cbranch_execnz .LBB9_4
; %bb.1:
	s_or_b64 exec, exec, s[18:19]
	v_cmp_gt_i32_e32 vcc, s51, v11
	s_and_saveexec_b64 s[18:19], vcc
	s_cbranch_execnz .LBB9_28
.LBB9_2:
	s_or_b64 exec, exec, s[18:19]
	v_cmp_gt_i32_e32 vcc, s51, v11
	s_and_saveexec_b64 s[18:19], vcc
	s_cbranch_execnz .LBB9_52
.LBB9_3:
	s_or_b64 exec, exec, s[18:19]
	v_cmp_gt_i32_e32 vcc, s51, v11
	s_and_saveexec_b64 s[2:3], vcc
	s_cbranch_execnz .LBB9_76
	s_branch .LBB9_99
.LBB9_4:
	s_and_b64 vcc, exec, s[0:1]
                                        ; implicit-def: $vgpr2
                                        ; implicit-def: $vgpr0
                                        ; implicit-def: $vgpr4
	s_cbranch_vccnz .LBB9_11
; %bb.5:
	v_mov_b32_e32 v2, 0
	s_andn2_b64 vcc, exec, s[40:41]
	v_mov_b32_e32 v0, 0
	v_mov_b32_e32 v4, 0
	s_cbranch_vccnz .LBB9_10
; %bb.6:
	s_add_i32 s2, s31, 1
	s_and_b32 s24, s2, 30
	s_add_u32 s2, s33, 0xffffffe8
	s_addc_u32 s3, s50, -1
	v_mov_b32_e32 v4, 0
	v_mov_b32_e32 v0, 0
	;; [unrolled: 1-line block ×4, first 2 shown]
.LBB9_7:                                ; =>This Inner Loop Header: Depth=1
	s_load_dwordx4 s[44:47], s[2:3], 0x1c
	s_load_dwordx2 s[42:43], s[2:3], 0x2c
	s_load_dwordx2 s[48:49], s[2:3], 0xec
	s_load_dwordx4 s[52:55], s[2:3], 0xdc
	s_add_u32 s2, s2, 24
	s_waitcnt lgkmcnt(0)
	v_mul_hi_u32 v3, s45, v1
	s_addc_u32 s3, s3, 0
	s_add_i32 s24, s24, -2
	s_cmp_lg_u32 s24, 0
	v_add_u32_e32 v3, v1, v3
	v_lshrrev_b32_e32 v3, s46, v3
	v_mul_lo_u32 v5, v3, s44
	v_mul_hi_u32 v6, s42, v3
	v_sub_u32_e32 v5, v1, v5
	v_add_u32_e32 v1, v3, v6
	v_lshrrev_b32_e32 v1, s43, v1
	v_mul_lo_u32 v8, v1, s47
	v_mul_lo_u32 v6, v5, s52
	;; [unrolled: 1-line block ×4, first 2 shown]
	v_sub_u32_e32 v3, v3, v8
	v_mul_lo_u32 v8, v3, s55
	v_mul_lo_u32 v9, v3, s48
	;; [unrolled: 1-line block ×3, first 2 shown]
	v_add3_u32 v2, v6, v2, v8
	v_add3_u32 v0, v7, v0, v9
	;; [unrolled: 1-line block ×3, first 2 shown]
	s_cbranch_scc1 .LBB9_7
; %bb.8:
	s_bitcmp1_b32 s31, 0
	s_cselect_b64 s[42:43], -1, 0
	s_and_b64 vcc, exec, s[42:43]
	s_cbranch_vccnz .LBB9_10
; %bb.9:
	s_load_dwordx2 s[42:43], s[2:3], 0x1c
	s_load_dword s24, s[2:3], 0x24
	s_load_dwordx2 s[44:45], s[2:3], 0xdc
	s_waitcnt lgkmcnt(0)
	v_mul_hi_u32 v3, s43, v1
	v_add_u32_e32 v3, v1, v3
	v_lshrrev_b32_e32 v3, s24, v3
	v_mul_lo_u32 v3, v3, s42
	s_load_dword s24, s[2:3], 0xe4
	v_sub_u32_e32 v5, v1, v3
	v_mad_u64_u32 v[2:3], s[2:3], v5, s44, v[2:3]
	v_mad_u64_u32 v[0:1], s[2:3], v5, s45, v[0:1]
	s_waitcnt lgkmcnt(0)
	v_mad_u64_u32 v[4:5], s[2:3], v5, s24, v[4:5]
.LBB9_10:
	s_mov_b64 s[2:3], 0
.LBB9_11:
	s_andn2_b64 vcc, exec, s[2:3]
	s_cbranch_vccnz .LBB9_14
; %bb.12:
	v_mul_hi_u32 v0, s26, v11
	s_andn2_b64 vcc, exec, s[34:35]
	v_add_u32_e32 v0, v11, v0
	v_lshrrev_b32_e32 v1, s27, v0
	v_mul_lo_u32 v0, v1, s25
	v_sub_u32_e32 v3, v11, v0
	v_mul_lo_u32 v2, v3, s36
	v_mul_lo_u32 v0, v3, s37
	;; [unrolled: 1-line block ×3, first 2 shown]
	s_cbranch_vccnz .LBB9_14
; %bb.13:
	v_mul_hi_u32 v3, s29, v1
	v_add_u32_e32 v3, v1, v3
	v_lshrrev_b32_e32 v3, s30, v3
	v_mul_lo_u32 v3, v3, s28
	v_sub_u32_e32 v5, v1, v3
	v_mad_u64_u32 v[2:3], s[2:3], v5, s39, v[2:3]
	v_mad_u64_u32 v[0:1], s[2:3], v5, s6, v[0:1]
	;; [unrolled: 1-line block ×3, first 2 shown]
.LBB9_14:
	global_load_dwordx2 v[3:4], v4, s[12:13]
	v_mov_b32_e32 v5, 0
	v_mov_b32_e32 v6, 0
	s_waitcnt vmcnt(0)
	v_cmp_lt_i64_e32 vcc, s[14:15], v[3:4]
	s_and_saveexec_b64 s[42:43], vcc
	s_cbranch_execz .LBB9_20
; %bb.15:
	v_mov_b32_e32 v5, s15
	v_subrev_co_u32_e32 v1, vcc, s14, v3
	v_subb_co_u32_e32 v7, vcc, v4, v5, vcc
	v_or_b32_e32 v6, s17, v7
	v_mov_b32_e32 v5, 0
	v_cmp_ne_u64_e32 vcc, 0, v[5:6]
                                        ; implicit-def: $vgpr5_vgpr6
	s_and_saveexec_b64 s[2:3], vcc
	s_xor_b64 s[44:45], exec, s[2:3]
	s_cbranch_execz .LBB9_17
; %bb.16:
	s_ashr_i32 s46, s17, 31
	s_add_u32 s2, s16, s46
	s_mov_b32 s47, s46
	s_addc_u32 s3, s17, s46
	s_xor_b64 s[48:49], s[2:3], s[46:47]
	v_cvt_f32_u32_e32 v5, s48
	v_cvt_f32_u32_e32 v6, s49
	s_sub_u32 s24, 0, s48
	s_subb_u32 s47, 0, s49
	v_ashrrev_i32_e32 v9, 31, v7
	v_madmk_f32 v5, v6, 0x4f800000, v5
	v_rcp_f32_e32 v5, v5
	v_add_co_u32_e32 v1, vcc, v1, v9
	v_xor_b32_e32 v1, v1, v9
	v_mul_f32_e32 v5, 0x5f7ffffc, v5
	v_mul_f32_e32 v6, 0x2f800000, v5
	v_trunc_f32_e32 v6, v6
	v_madmk_f32 v5, v6, 0xcf800000, v5
	v_cvt_u32_f32_e32 v6, v6
	v_cvt_u32_f32_e32 v5, v5
	v_addc_co_u32_e32 v7, vcc, v7, v9, vcc
	v_readfirstlane_b32 s52, v6
	v_readfirstlane_b32 s2, v5
	s_mul_i32 s3, s24, s52
	s_mul_hi_u32 s54, s24, s2
	s_mul_i32 s53, s47, s2
	s_add_i32 s3, s54, s3
	s_add_i32 s3, s3, s53
	s_mul_i32 s55, s24, s2
	s_mul_i32 s54, s2, s3
	s_mul_hi_u32 s56, s2, s55
	s_mul_hi_u32 s53, s2, s3
	s_add_u32 s54, s56, s54
	s_addc_u32 s53, 0, s53
	s_mul_hi_u32 s57, s52, s55
	s_mul_i32 s55, s52, s55
	s_add_u32 s54, s54, s55
	s_mul_hi_u32 s56, s52, s3
	s_addc_u32 s53, s53, s57
	s_addc_u32 s54, s56, 0
	s_mul_i32 s3, s52, s3
	s_add_u32 s3, s53, s3
	s_addc_u32 s53, 0, s54
	s_add_u32 s54, s2, s3
	s_cselect_b64 s[2:3], -1, 0
	s_cmp_lg_u64 s[2:3], 0
	s_addc_u32 s52, s52, s53
	s_mul_i32 s2, s24, s52
	s_mul_hi_u32 s3, s24, s54
	s_add_i32 s2, s3, s2
	s_mul_i32 s47, s47, s54
	s_add_i32 s2, s2, s47
	s_mul_i32 s24, s24, s54
	s_mul_hi_u32 s47, s52, s24
	s_mul_i32 s53, s52, s24
	s_mul_i32 s56, s54, s2
	s_mul_hi_u32 s24, s54, s24
	s_mul_hi_u32 s55, s54, s2
	s_add_u32 s24, s24, s56
	s_addc_u32 s55, 0, s55
	s_add_u32 s24, s24, s53
	s_mul_hi_u32 s3, s52, s2
	s_addc_u32 s24, s55, s47
	s_addc_u32 s3, s3, 0
	s_mul_i32 s2, s52, s2
	s_add_u32 s2, s24, s2
	s_addc_u32 s24, 0, s3
	s_add_u32 s47, s54, s2
	s_cselect_b64 s[2:3], -1, 0
	s_cmp_lg_u64 s[2:3], 0
	s_addc_u32 s24, s52, s24
	v_mad_u64_u32 v[5:6], s[2:3], v1, s24, 0
	v_mul_hi_u32 v8, v1, s47
	v_xor_b32_e32 v10, v7, v9
	v_add_co_u32_e32 v12, vcc, v8, v5
	v_addc_co_u32_e32 v13, vcc, 0, v6, vcc
	v_mad_u64_u32 v[5:6], s[2:3], v10, s47, 0
	v_mad_u64_u32 v[7:8], s[2:3], v10, s24, 0
	v_add_co_u32_e32 v5, vcc, v12, v5
	v_addc_co_u32_e32 v5, vcc, v13, v6, vcc
	v_addc_co_u32_e32 v6, vcc, 0, v8, vcc
	v_add_co_u32_e32 v7, vcc, v5, v7
	v_addc_co_u32_e32 v8, vcc, 0, v6, vcc
	v_mul_lo_u32 v12, s49, v7
	v_mul_lo_u32 v13, s48, v8
	v_mad_u64_u32 v[5:6], s[2:3], s48, v7, 0
	v_add3_u32 v6, v6, v13, v12
	v_sub_u32_e32 v12, v10, v6
	v_mov_b32_e32 v13, s49
	v_sub_co_u32_e32 v1, vcc, v1, v5
	v_subb_co_u32_e64 v5, s[2:3], v12, v13, vcc
	v_subrev_co_u32_e64 v12, s[2:3], s48, v1
	v_subbrev_co_u32_e64 v5, s[2:3], 0, v5, s[2:3]
	v_cmp_le_u32_e64 s[2:3], s49, v5
	v_cndmask_b32_e64 v13, 0, -1, s[2:3]
	v_cmp_le_u32_e64 s[2:3], s48, v12
	v_cndmask_b32_e64 v12, 0, -1, s[2:3]
	v_cmp_eq_u32_e64 s[2:3], s49, v5
	v_cndmask_b32_e64 v5, v13, v12, s[2:3]
	v_add_co_u32_e64 v12, s[2:3], 2, v7
	v_subb_co_u32_e32 v6, vcc, v10, v6, vcc
	v_addc_co_u32_e64 v13, s[2:3], 0, v8, s[2:3]
	v_cmp_le_u32_e32 vcc, s49, v6
	v_add_co_u32_e64 v14, s[2:3], 1, v7
	v_cndmask_b32_e64 v10, 0, -1, vcc
	v_cmp_le_u32_e32 vcc, s48, v1
	v_addc_co_u32_e64 v15, s[2:3], 0, v8, s[2:3]
	v_cndmask_b32_e64 v1, 0, -1, vcc
	v_cmp_eq_u32_e32 vcc, s49, v6
	v_cmp_ne_u32_e64 s[2:3], 0, v5
	v_cndmask_b32_e32 v1, v10, v1, vcc
	v_cndmask_b32_e64 v5, v15, v13, s[2:3]
	v_cmp_ne_u32_e32 vcc, 0, v1
	v_cndmask_b32_e32 v1, v8, v5, vcc
	v_cndmask_b32_e64 v5, v14, v12, s[2:3]
	v_cndmask_b32_e32 v5, v7, v5, vcc
	v_xor_b32_e32 v6, s46, v9
	v_xor_b32_e32 v5, v5, v6
	;; [unrolled: 1-line block ×3, first 2 shown]
	v_sub_co_u32_e32 v5, vcc, v5, v6
	v_subb_co_u32_e32 v6, vcc, v1, v6, vcc
                                        ; implicit-def: $vgpr1
.LBB9_17:
	s_andn2_saveexec_b64 s[2:3], s[44:45]
	s_cbranch_execz .LBB9_19
; %bb.18:
	v_cvt_f32_u32_e32 v5, s16
	s_sub_i32 s24, 0, s16
	v_rcp_iflag_f32_e32 v5, v5
	v_mul_f32_e32 v5, 0x4f7ffffe, v5
	v_cvt_u32_f32_e32 v5, v5
	v_mul_lo_u32 v6, s24, v5
	v_mul_hi_u32 v6, v5, v6
	v_add_u32_e32 v5, v5, v6
	v_mul_hi_u32 v5, v1, v5
	v_mul_lo_u32 v6, v5, s16
	v_add_u32_e32 v7, 1, v5
	v_sub_u32_e32 v1, v1, v6
	v_subrev_u32_e32 v6, s16, v1
	v_cmp_le_u32_e32 vcc, s16, v1
	v_cndmask_b32_e32 v1, v1, v6, vcc
	v_cndmask_b32_e32 v5, v5, v7, vcc
	v_add_u32_e32 v6, 1, v5
	v_cmp_le_u32_e32 vcc, s16, v1
	v_cndmask_b32_e32 v5, v5, v6, vcc
	v_mov_b32_e32 v6, 0
.LBB9_19:
	s_or_b64 exec, exec, s[2:3]
.LBB9_20:
	s_or_b64 exec, exec, s[42:43]
	v_or_b32_e32 v8, s17, v4
	v_mov_b32_e32 v7, 0
	v_cmp_ne_u64_e32 vcc, 0, v[7:8]
                                        ; implicit-def: $vgpr7_vgpr8
	s_and_saveexec_b64 s[2:3], vcc
	s_xor_b64 s[42:43], exec, s[2:3]
	s_cbranch_execz .LBB9_22
; %bb.21:
	s_ashr_i32 s44, s17, 31
	s_add_u32 s2, s16, s44
	s_mov_b32 s45, s44
	s_addc_u32 s3, s17, s44
	s_xor_b64 s[46:47], s[2:3], s[44:45]
	v_cvt_f32_u32_e32 v1, s46
	v_cvt_f32_u32_e32 v7, s47
	s_sub_u32 s24, 0, s46
	s_subb_u32 s45, 0, s47
	v_madmk_f32 v1, v7, 0x4f800000, v1
	v_rcp_f32_e32 v1, v1
	v_mul_f32_e32 v1, 0x5f7ffffc, v1
	v_mul_f32_e32 v7, 0x2f800000, v1
	v_trunc_f32_e32 v7, v7
	v_madmk_f32 v1, v7, 0xcf800000, v1
	v_cvt_u32_f32_e32 v7, v7
	v_cvt_u32_f32_e32 v1, v1
	v_readfirstlane_b32 s48, v7
	v_readfirstlane_b32 s2, v1
	s_mul_i32 s3, s24, s48
	s_mul_hi_u32 s52, s24, s2
	s_mul_i32 s49, s45, s2
	s_add_i32 s3, s52, s3
	s_add_i32 s3, s3, s49
	s_mul_i32 s53, s24, s2
	s_mul_i32 s52, s2, s3
	s_mul_hi_u32 s54, s2, s53
	s_mul_hi_u32 s49, s2, s3
	s_add_u32 s52, s54, s52
	s_addc_u32 s49, 0, s49
	s_mul_hi_u32 s55, s48, s53
	s_mul_i32 s53, s48, s53
	s_add_u32 s52, s52, s53
	s_mul_hi_u32 s54, s48, s3
	s_addc_u32 s49, s49, s55
	s_addc_u32 s52, s54, 0
	s_mul_i32 s3, s48, s3
	s_add_u32 s3, s49, s3
	s_addc_u32 s49, 0, s52
	s_add_u32 s52, s2, s3
	s_cselect_b64 s[2:3], -1, 0
	s_cmp_lg_u64 s[2:3], 0
	s_addc_u32 s48, s48, s49
	s_mul_i32 s2, s24, s48
	s_mul_hi_u32 s3, s24, s52
	s_add_i32 s2, s3, s2
	s_mul_i32 s45, s45, s52
	s_add_i32 s2, s2, s45
	s_mul_i32 s24, s24, s52
	s_mul_hi_u32 s45, s48, s24
	s_mul_i32 s49, s48, s24
	s_mul_i32 s54, s52, s2
	s_mul_hi_u32 s24, s52, s24
	s_mul_hi_u32 s53, s52, s2
	s_add_u32 s24, s24, s54
	s_addc_u32 s53, 0, s53
	s_add_u32 s24, s24, s49
	s_mul_hi_u32 s3, s48, s2
	s_addc_u32 s24, s53, s45
	s_addc_u32 s3, s3, 0
	s_mul_i32 s2, s48, s2
	s_add_u32 s2, s24, s2
	s_addc_u32 s24, 0, s3
	s_add_u32 s45, s52, s2
	s_cselect_b64 s[2:3], -1, 0
	v_ashrrev_i32_e32 v1, 31, v4
	s_cmp_lg_u64 s[2:3], 0
	v_add_co_u32_e32 v7, vcc, v3, v1
	s_addc_u32 s24, s48, s24
	v_xor_b32_e32 v12, v7, v1
	v_mad_u64_u32 v[7:8], s[2:3], v12, s24, 0
	v_mul_hi_u32 v10, v12, s45
	v_addc_co_u32_e32 v9, vcc, v4, v1, vcc
	v_xor_b32_e32 v13, v9, v1
	v_add_co_u32_e32 v14, vcc, v10, v7
	v_addc_co_u32_e32 v15, vcc, 0, v8, vcc
	v_mad_u64_u32 v[7:8], s[2:3], v13, s45, 0
	v_mad_u64_u32 v[9:10], s[2:3], v13, s24, 0
	v_add_co_u32_e32 v7, vcc, v14, v7
	v_addc_co_u32_e32 v7, vcc, v15, v8, vcc
	v_addc_co_u32_e32 v8, vcc, 0, v10, vcc
	v_add_co_u32_e32 v9, vcc, v7, v9
	v_addc_co_u32_e32 v10, vcc, 0, v8, vcc
	v_mul_lo_u32 v14, s47, v9
	v_mul_lo_u32 v15, s46, v10
	v_mad_u64_u32 v[7:8], s[2:3], s46, v9, 0
	v_xor_b32_e32 v1, s44, v1
	v_add3_u32 v8, v8, v15, v14
	v_sub_u32_e32 v14, v13, v8
	v_mov_b32_e32 v15, s47
	v_sub_co_u32_e32 v7, vcc, v12, v7
	v_subb_co_u32_e64 v12, s[2:3], v14, v15, vcc
	v_subrev_co_u32_e64 v14, s[2:3], s46, v7
	v_subbrev_co_u32_e64 v12, s[2:3], 0, v12, s[2:3]
	v_cmp_le_u32_e64 s[2:3], s47, v12
	v_cndmask_b32_e64 v15, 0, -1, s[2:3]
	v_cmp_le_u32_e64 s[2:3], s46, v14
	v_cndmask_b32_e64 v14, 0, -1, s[2:3]
	v_cmp_eq_u32_e64 s[2:3], s47, v12
	v_cndmask_b32_e64 v12, v15, v14, s[2:3]
	v_add_co_u32_e64 v14, s[2:3], 2, v9
	v_subb_co_u32_e32 v8, vcc, v13, v8, vcc
	v_addc_co_u32_e64 v15, s[2:3], 0, v10, s[2:3]
	v_cmp_le_u32_e32 vcc, s47, v8
	v_add_co_u32_e64 v16, s[2:3], 1, v9
	v_cndmask_b32_e64 v13, 0, -1, vcc
	v_cmp_le_u32_e32 vcc, s46, v7
	v_addc_co_u32_e64 v17, s[2:3], 0, v10, s[2:3]
	v_cndmask_b32_e64 v7, 0, -1, vcc
	v_cmp_eq_u32_e32 vcc, s47, v8
	v_cmp_ne_u32_e64 s[2:3], 0, v12
	v_cndmask_b32_e32 v7, v13, v7, vcc
	v_cndmask_b32_e64 v12, v17, v15, s[2:3]
	v_cmp_ne_u32_e32 vcc, 0, v7
	v_cndmask_b32_e64 v8, v16, v14, s[2:3]
	v_cndmask_b32_e32 v7, v10, v12, vcc
	v_cndmask_b32_e32 v8, v9, v8, vcc
	v_xor_b32_e32 v9, v7, v1
	v_xor_b32_e32 v7, v8, v1
	v_sub_co_u32_e32 v7, vcc, v7, v1
	v_subb_co_u32_e32 v8, vcc, v9, v1, vcc
.LBB9_22:
	s_andn2_saveexec_b64 s[2:3], s[42:43]
	s_cbranch_execz .LBB9_24
; %bb.23:
	v_cvt_f32_u32_e32 v1, s16
	s_sub_i32 s24, 0, s16
	v_rcp_iflag_f32_e32 v1, v1
	v_mul_f32_e32 v1, 0x4f7ffffe, v1
	v_cvt_u32_f32_e32 v1, v1
	v_mul_lo_u32 v7, s24, v1
	v_mul_hi_u32 v7, v1, v7
	v_add_u32_e32 v1, v1, v7
	v_mul_hi_u32 v1, v3, v1
	v_mul_lo_u32 v7, v1, s16
	v_add_u32_e32 v8, 1, v1
	v_sub_u32_e32 v7, v3, v7
	v_subrev_u32_e32 v9, s16, v7
	v_cmp_le_u32_e32 vcc, s16, v7
	v_cndmask_b32_e32 v7, v7, v9, vcc
	v_cndmask_b32_e32 v1, v1, v8, vcc
	v_add_u32_e32 v8, 1, v1
	v_cmp_le_u32_e32 vcc, s16, v7
	v_cndmask_b32_e32 v7, v1, v8, vcc
	v_mov_b32_e32 v8, 0
.LBB9_24:
	s_or_b64 exec, exec, s[2:3]
	v_mul_lo_u32 v1, v6, s16
	v_mul_lo_u32 v12, v5, s17
	v_mad_u64_u32 v[9:10], s[2:3], v5, s16, 0
	v_add3_u32 v10, v10, v12, v1
	v_cmp_gt_i64_e32 vcc, v[9:10], v[3:4]
	v_mov_b32_e32 v1, s15
	v_add_co_u32_e64 v9, s[2:3], s14, v9
	v_addc_co_u32_e64 v10, s[2:3], v10, v1, s[2:3]
	v_cmp_ge_i64_e64 s[2:3], v[3:4], v[9:10]
	s_or_b64 s[2:3], vcc, s[2:3]
	v_cndmask_b32_e64 v1, 0, 1, s[2:3]
	v_add_co_u32_e32 v9, vcc, v5, v1
	v_addc_co_u32_e32 v10, vcc, 0, v6, vcc
	v_cmp_gt_i64_e32 vcc, s[4:5], v[7:8]
	v_mov_b32_e32 v1, s5
	v_cndmask_b32_e32 v6, v1, v8, vcc
	v_mov_b32_e32 v1, s4
	v_cndmask_b32_e32 v5, v1, v7, vcc
	v_cmp_le_i64_e32 vcc, v[9:10], v[5:6]
	s_and_saveexec_b64 s[42:43], vcc
	s_cbranch_execz .LBB9_27
; %bb.25:
	global_load_ushort v12, v2, s[8:9]
	v_mul_lo_u32 v14, s17, v9
	v_mul_lo_u32 v15, s16, v10
	v_mad_u64_u32 v[7:8], s[2:3], s16, v9, 0
	v_mov_b32_e32 v13, s9
	v_add_co_u32_e32 v1, vcc, s8, v2
	v_addc_co_u32_e32 v2, vcc, 0, v13, vcc
	v_add3_u32 v8, v8, v15, v14
	v_sub_co_u32_e32 v3, vcc, v3, v7
	v_subb_co_u32_e32 v4, vcc, v4, v8, vcc
	v_mul_lo_u32 v15, s23, v3
	v_mul_lo_u32 v16, s22, v4
	v_mad_u64_u32 v[7:8], s[2:3], s22, v3, 0
	v_mul_lo_u32 v17, s21, v9
	v_mul_lo_u32 v18, s20, v10
	v_mad_u64_u32 v[13:14], s[2:3], s20, v9, 0
	v_add_co_u32_e32 v3, vcc, -1, v9
	v_add3_u32 v8, v8, v16, v15
	v_add3_u32 v14, v14, v18, v17
	v_addc_co_u32_e32 v4, vcc, -1, v10, vcc
	v_lshlrev_b64 v[7:8], 1, v[7:8]
	v_lshlrev_b64 v[9:10], 1, v[13:14]
	s_mul_i32 s24, s16, s23
	v_add_co_u32_e32 v7, vcc, v7, v9
	s_mul_hi_u32 s44, s16, s22
	v_addc_co_u32_e32 v8, vcc, v8, v10, vcc
	s_add_i32 s24, s44, s24
	s_mul_i32 s44, s17, s22
	v_add_co_u32_e32 v0, vcc, v7, v0
	s_add_i32 s45, s24, s44
	s_mul_i32 s44, s16, s22
	v_addc_co_u32_e32 v8, vcc, 0, v8, vcc
	s_lshl_b64 s[2:3], s[20:21], 1
	s_lshl_b64 s[44:45], s[44:45], 1
	v_mov_b32_e32 v9, s11
	v_add_co_u32_e32 v7, vcc, s10, v0
	s_sub_u32 s24, s2, s44
	v_addc_co_u32_e32 v8, vcc, v9, v8, vcc
	s_subb_u32 s46, s3, s45
	s_mov_b64 s[44:45], 0
.LBB9_26:                               ; =>This Inner Loop Header: Depth=1
	global_load_ushort v0, v[7:8], off
	v_add_co_u32_e32 v3, vcc, 1, v3
	v_addc_co_u32_e32 v4, vcc, 0, v4, vcc
	v_cmp_ge_i64_e64 s[2:3], v[3:4], v[5:6]
	v_mov_b32_e32 v9, s46
	v_add_co_u32_e32 v7, vcc, s24, v7
	v_addc_co_u32_e32 v8, vcc, v8, v9, vcc
	s_or_b64 s[44:45], s[2:3], s[44:45]
	s_waitcnt vmcnt(0)
	v_add_f16_e32 v12, v12, v0
	global_store_short v[1:2], v12, off
	s_andn2_b64 exec, exec, s[44:45]
	s_cbranch_execnz .LBB9_26
.LBB9_27:
	s_or_b64 exec, exec, s[42:43]
	v_add_u32_e32 v11, 0x100, v11
	s_or_b64 exec, exec, s[18:19]
	v_cmp_gt_i32_e32 vcc, s51, v11
	s_and_saveexec_b64 s[18:19], vcc
	s_cbranch_execz .LBB9_2
.LBB9_28:
	s_and_b64 vcc, exec, s[0:1]
	s_cbranch_vccnz .LBB9_35
; %bb.29:
	v_mov_b32_e32 v2, 0
	s_andn2_b64 vcc, exec, s[40:41]
	v_mov_b32_e32 v0, 0
	v_mov_b32_e32 v4, 0
	s_cbranch_vccnz .LBB9_34
; %bb.30:
	s_add_i32 s2, s31, 1
	s_and_b32 s24, s2, 30
	s_add_u32 s2, s33, 0xffffffe8
	s_addc_u32 s3, s50, -1
	v_mov_b32_e32 v4, 0
	v_mov_b32_e32 v0, 0
	;; [unrolled: 1-line block ×4, first 2 shown]
.LBB9_31:                               ; =>This Inner Loop Header: Depth=1
	s_load_dwordx4 s[44:47], s[2:3], 0x1c
	s_load_dwordx2 s[42:43], s[2:3], 0x2c
	s_load_dwordx2 s[48:49], s[2:3], 0xec
	s_load_dwordx4 s[52:55], s[2:3], 0xdc
	s_add_u32 s2, s2, 24
	s_waitcnt lgkmcnt(0)
	v_mul_hi_u32 v3, s45, v1
	s_addc_u32 s3, s3, 0
	s_add_i32 s24, s24, -2
	s_cmp_eq_u32 s24, 0
	v_add_u32_e32 v3, v1, v3
	v_lshrrev_b32_e32 v3, s46, v3
	v_mul_lo_u32 v5, v3, s44
	v_mul_hi_u32 v6, s42, v3
	v_sub_u32_e32 v5, v1, v5
	v_add_u32_e32 v1, v3, v6
	v_lshrrev_b32_e32 v1, s43, v1
	v_mul_lo_u32 v8, v1, s47
	v_mul_lo_u32 v6, v5, s52
	v_mul_lo_u32 v7, v5, s53
	v_mul_lo_u32 v5, v5, s54
	v_sub_u32_e32 v3, v3, v8
	v_mul_lo_u32 v8, v3, s55
	v_mul_lo_u32 v9, v3, s48
	;; [unrolled: 1-line block ×3, first 2 shown]
	v_add3_u32 v2, v6, v2, v8
	v_add3_u32 v0, v7, v0, v9
	;; [unrolled: 1-line block ×3, first 2 shown]
	s_cbranch_scc0 .LBB9_31
; %bb.32:
	s_bitcmp1_b32 s31, 0
	s_cselect_b64 s[42:43], -1, 0
	s_and_b64 vcc, exec, s[42:43]
	s_cbranch_vccnz .LBB9_34
; %bb.33:
	s_load_dwordx2 s[42:43], s[2:3], 0x1c
	s_load_dword s24, s[2:3], 0x24
	s_load_dwordx2 s[44:45], s[2:3], 0xdc
	s_waitcnt lgkmcnt(0)
	v_mul_hi_u32 v3, s43, v1
	v_add_u32_e32 v3, v1, v3
	v_lshrrev_b32_e32 v3, s24, v3
	v_mul_lo_u32 v3, v3, s42
	s_load_dword s24, s[2:3], 0xe4
	v_sub_u32_e32 v5, v1, v3
	v_mad_u64_u32 v[2:3], s[2:3], v5, s44, v[2:3]
	v_mad_u64_u32 v[0:1], s[2:3], v5, s45, v[0:1]
	s_waitcnt lgkmcnt(0)
	v_mad_u64_u32 v[4:5], s[2:3], v5, s24, v[4:5]
.LBB9_34:
	s_cbranch_execz .LBB9_36
	s_branch .LBB9_38
.LBB9_35:
                                        ; implicit-def: $vgpr2
                                        ; implicit-def: $vgpr0
                                        ; implicit-def: $vgpr4
.LBB9_36:
	v_mul_hi_u32 v0, s26, v11
	s_andn2_b64 vcc, exec, s[34:35]
	v_add_u32_e32 v0, v11, v0
	v_lshrrev_b32_e32 v1, s27, v0
	v_mul_lo_u32 v0, v1, s25
	v_sub_u32_e32 v3, v11, v0
	v_mul_lo_u32 v2, v3, s36
	v_mul_lo_u32 v0, v3, s37
	;; [unrolled: 1-line block ×3, first 2 shown]
	s_cbranch_vccnz .LBB9_38
; %bb.37:
	v_mul_hi_u32 v3, s29, v1
	v_add_u32_e32 v3, v1, v3
	v_lshrrev_b32_e32 v3, s30, v3
	v_mul_lo_u32 v3, v3, s28
	v_sub_u32_e32 v5, v1, v3
	v_mad_u64_u32 v[2:3], s[2:3], v5, s39, v[2:3]
	v_mad_u64_u32 v[0:1], s[2:3], v5, s6, v[0:1]
	;; [unrolled: 1-line block ×3, first 2 shown]
.LBB9_38:
	global_load_dwordx2 v[3:4], v4, s[12:13]
	v_mov_b32_e32 v5, 0
	v_mov_b32_e32 v6, 0
	s_waitcnt vmcnt(0)
	v_cmp_lt_i64_e32 vcc, s[14:15], v[3:4]
	s_and_saveexec_b64 s[42:43], vcc
	s_cbranch_execz .LBB9_44
; %bb.39:
	v_mov_b32_e32 v5, s15
	v_subrev_co_u32_e32 v1, vcc, s14, v3
	v_subb_co_u32_e32 v7, vcc, v4, v5, vcc
	v_or_b32_e32 v6, s17, v7
	v_mov_b32_e32 v5, 0
	v_cmp_ne_u64_e32 vcc, 0, v[5:6]
                                        ; implicit-def: $vgpr5_vgpr6
	s_and_saveexec_b64 s[2:3], vcc
	s_xor_b64 s[44:45], exec, s[2:3]
	s_cbranch_execz .LBB9_41
; %bb.40:
	s_ashr_i32 s46, s17, 31
	s_add_u32 s2, s16, s46
	s_mov_b32 s47, s46
	s_addc_u32 s3, s17, s46
	s_xor_b64 s[48:49], s[2:3], s[46:47]
	v_cvt_f32_u32_e32 v5, s48
	v_cvt_f32_u32_e32 v6, s49
	s_sub_u32 s24, 0, s48
	s_subb_u32 s47, 0, s49
	v_ashrrev_i32_e32 v9, 31, v7
	v_madmk_f32 v5, v6, 0x4f800000, v5
	v_rcp_f32_e32 v5, v5
	v_add_co_u32_e32 v1, vcc, v1, v9
	v_xor_b32_e32 v1, v1, v9
	v_mul_f32_e32 v5, 0x5f7ffffc, v5
	v_mul_f32_e32 v6, 0x2f800000, v5
	v_trunc_f32_e32 v6, v6
	v_madmk_f32 v5, v6, 0xcf800000, v5
	v_cvt_u32_f32_e32 v6, v6
	v_cvt_u32_f32_e32 v5, v5
	v_addc_co_u32_e32 v7, vcc, v7, v9, vcc
	v_readfirstlane_b32 s52, v6
	v_readfirstlane_b32 s2, v5
	s_mul_i32 s3, s24, s52
	s_mul_hi_u32 s54, s24, s2
	s_mul_i32 s53, s47, s2
	s_add_i32 s3, s54, s3
	s_add_i32 s3, s3, s53
	s_mul_i32 s55, s24, s2
	s_mul_i32 s54, s2, s3
	s_mul_hi_u32 s56, s2, s55
	s_mul_hi_u32 s53, s2, s3
	s_add_u32 s54, s56, s54
	s_addc_u32 s53, 0, s53
	s_mul_hi_u32 s57, s52, s55
	s_mul_i32 s55, s52, s55
	s_add_u32 s54, s54, s55
	s_mul_hi_u32 s56, s52, s3
	s_addc_u32 s53, s53, s57
	s_addc_u32 s54, s56, 0
	s_mul_i32 s3, s52, s3
	s_add_u32 s3, s53, s3
	s_addc_u32 s53, 0, s54
	s_add_u32 s54, s2, s3
	s_cselect_b64 s[2:3], -1, 0
	s_cmp_lg_u64 s[2:3], 0
	s_addc_u32 s52, s52, s53
	s_mul_i32 s2, s24, s52
	s_mul_hi_u32 s3, s24, s54
	s_add_i32 s2, s3, s2
	s_mul_i32 s47, s47, s54
	s_add_i32 s2, s2, s47
	s_mul_i32 s24, s24, s54
	s_mul_hi_u32 s47, s52, s24
	s_mul_i32 s53, s52, s24
	s_mul_i32 s56, s54, s2
	s_mul_hi_u32 s24, s54, s24
	s_mul_hi_u32 s55, s54, s2
	s_add_u32 s24, s24, s56
	s_addc_u32 s55, 0, s55
	s_add_u32 s24, s24, s53
	s_mul_hi_u32 s3, s52, s2
	s_addc_u32 s24, s55, s47
	s_addc_u32 s3, s3, 0
	s_mul_i32 s2, s52, s2
	s_add_u32 s2, s24, s2
	s_addc_u32 s24, 0, s3
	s_add_u32 s47, s54, s2
	s_cselect_b64 s[2:3], -1, 0
	s_cmp_lg_u64 s[2:3], 0
	s_addc_u32 s24, s52, s24
	v_mad_u64_u32 v[5:6], s[2:3], v1, s24, 0
	v_mul_hi_u32 v8, v1, s47
	v_xor_b32_e32 v10, v7, v9
	v_add_co_u32_e32 v12, vcc, v8, v5
	v_addc_co_u32_e32 v13, vcc, 0, v6, vcc
	v_mad_u64_u32 v[5:6], s[2:3], v10, s47, 0
	v_mad_u64_u32 v[7:8], s[2:3], v10, s24, 0
	v_add_co_u32_e32 v5, vcc, v12, v5
	v_addc_co_u32_e32 v5, vcc, v13, v6, vcc
	v_addc_co_u32_e32 v6, vcc, 0, v8, vcc
	v_add_co_u32_e32 v7, vcc, v5, v7
	v_addc_co_u32_e32 v8, vcc, 0, v6, vcc
	v_mul_lo_u32 v12, s49, v7
	v_mul_lo_u32 v13, s48, v8
	v_mad_u64_u32 v[5:6], s[2:3], s48, v7, 0
	v_add3_u32 v6, v6, v13, v12
	v_sub_u32_e32 v12, v10, v6
	v_mov_b32_e32 v13, s49
	v_sub_co_u32_e32 v1, vcc, v1, v5
	v_subb_co_u32_e64 v5, s[2:3], v12, v13, vcc
	v_subrev_co_u32_e64 v12, s[2:3], s48, v1
	v_subbrev_co_u32_e64 v5, s[2:3], 0, v5, s[2:3]
	v_cmp_le_u32_e64 s[2:3], s49, v5
	v_cndmask_b32_e64 v13, 0, -1, s[2:3]
	v_cmp_le_u32_e64 s[2:3], s48, v12
	v_cndmask_b32_e64 v12, 0, -1, s[2:3]
	v_cmp_eq_u32_e64 s[2:3], s49, v5
	v_cndmask_b32_e64 v5, v13, v12, s[2:3]
	v_add_co_u32_e64 v12, s[2:3], 2, v7
	v_subb_co_u32_e32 v6, vcc, v10, v6, vcc
	v_addc_co_u32_e64 v13, s[2:3], 0, v8, s[2:3]
	v_cmp_le_u32_e32 vcc, s49, v6
	v_add_co_u32_e64 v14, s[2:3], 1, v7
	v_cndmask_b32_e64 v10, 0, -1, vcc
	v_cmp_le_u32_e32 vcc, s48, v1
	v_addc_co_u32_e64 v15, s[2:3], 0, v8, s[2:3]
	v_cndmask_b32_e64 v1, 0, -1, vcc
	v_cmp_eq_u32_e32 vcc, s49, v6
	v_cmp_ne_u32_e64 s[2:3], 0, v5
	v_cndmask_b32_e32 v1, v10, v1, vcc
	v_cndmask_b32_e64 v5, v15, v13, s[2:3]
	v_cmp_ne_u32_e32 vcc, 0, v1
	v_cndmask_b32_e32 v1, v8, v5, vcc
	v_cndmask_b32_e64 v5, v14, v12, s[2:3]
	v_cndmask_b32_e32 v5, v7, v5, vcc
	v_xor_b32_e32 v6, s46, v9
	v_xor_b32_e32 v5, v5, v6
	;; [unrolled: 1-line block ×3, first 2 shown]
	v_sub_co_u32_e32 v5, vcc, v5, v6
	v_subb_co_u32_e32 v6, vcc, v1, v6, vcc
                                        ; implicit-def: $vgpr1
.LBB9_41:
	s_andn2_saveexec_b64 s[2:3], s[44:45]
	s_cbranch_execz .LBB9_43
; %bb.42:
	v_cvt_f32_u32_e32 v5, s16
	s_sub_i32 s24, 0, s16
	v_rcp_iflag_f32_e32 v5, v5
	v_mul_f32_e32 v5, 0x4f7ffffe, v5
	v_cvt_u32_f32_e32 v5, v5
	v_mul_lo_u32 v6, s24, v5
	v_mul_hi_u32 v6, v5, v6
	v_add_u32_e32 v5, v5, v6
	v_mul_hi_u32 v5, v1, v5
	v_mul_lo_u32 v6, v5, s16
	v_add_u32_e32 v7, 1, v5
	v_sub_u32_e32 v1, v1, v6
	v_subrev_u32_e32 v6, s16, v1
	v_cmp_le_u32_e32 vcc, s16, v1
	v_cndmask_b32_e32 v1, v1, v6, vcc
	v_cndmask_b32_e32 v5, v5, v7, vcc
	v_add_u32_e32 v6, 1, v5
	v_cmp_le_u32_e32 vcc, s16, v1
	v_cndmask_b32_e32 v5, v5, v6, vcc
	v_mov_b32_e32 v6, 0
.LBB9_43:
	s_or_b64 exec, exec, s[2:3]
.LBB9_44:
	s_or_b64 exec, exec, s[42:43]
	v_or_b32_e32 v8, s17, v4
	v_mov_b32_e32 v7, 0
	v_cmp_ne_u64_e32 vcc, 0, v[7:8]
                                        ; implicit-def: $vgpr7_vgpr8
	s_and_saveexec_b64 s[2:3], vcc
	s_xor_b64 s[42:43], exec, s[2:3]
	s_cbranch_execz .LBB9_46
; %bb.45:
	s_ashr_i32 s44, s17, 31
	s_add_u32 s2, s16, s44
	s_mov_b32 s45, s44
	s_addc_u32 s3, s17, s44
	s_xor_b64 s[46:47], s[2:3], s[44:45]
	v_cvt_f32_u32_e32 v1, s46
	v_cvt_f32_u32_e32 v7, s47
	s_sub_u32 s24, 0, s46
	s_subb_u32 s45, 0, s47
	v_madmk_f32 v1, v7, 0x4f800000, v1
	v_rcp_f32_e32 v1, v1
	v_mul_f32_e32 v1, 0x5f7ffffc, v1
	v_mul_f32_e32 v7, 0x2f800000, v1
	v_trunc_f32_e32 v7, v7
	v_madmk_f32 v1, v7, 0xcf800000, v1
	v_cvt_u32_f32_e32 v7, v7
	v_cvt_u32_f32_e32 v1, v1
	v_readfirstlane_b32 s48, v7
	v_readfirstlane_b32 s2, v1
	s_mul_i32 s3, s24, s48
	s_mul_hi_u32 s52, s24, s2
	s_mul_i32 s49, s45, s2
	s_add_i32 s3, s52, s3
	s_add_i32 s3, s3, s49
	s_mul_i32 s53, s24, s2
	s_mul_i32 s52, s2, s3
	s_mul_hi_u32 s54, s2, s53
	s_mul_hi_u32 s49, s2, s3
	s_add_u32 s52, s54, s52
	s_addc_u32 s49, 0, s49
	s_mul_hi_u32 s55, s48, s53
	s_mul_i32 s53, s48, s53
	s_add_u32 s52, s52, s53
	s_mul_hi_u32 s54, s48, s3
	s_addc_u32 s49, s49, s55
	s_addc_u32 s52, s54, 0
	s_mul_i32 s3, s48, s3
	s_add_u32 s3, s49, s3
	s_addc_u32 s49, 0, s52
	s_add_u32 s52, s2, s3
	s_cselect_b64 s[2:3], -1, 0
	s_cmp_lg_u64 s[2:3], 0
	s_addc_u32 s48, s48, s49
	s_mul_i32 s2, s24, s48
	s_mul_hi_u32 s3, s24, s52
	s_add_i32 s2, s3, s2
	s_mul_i32 s45, s45, s52
	s_add_i32 s2, s2, s45
	s_mul_i32 s24, s24, s52
	s_mul_hi_u32 s45, s48, s24
	s_mul_i32 s49, s48, s24
	s_mul_i32 s54, s52, s2
	s_mul_hi_u32 s24, s52, s24
	s_mul_hi_u32 s53, s52, s2
	s_add_u32 s24, s24, s54
	s_addc_u32 s53, 0, s53
	s_add_u32 s24, s24, s49
	s_mul_hi_u32 s3, s48, s2
	s_addc_u32 s24, s53, s45
	s_addc_u32 s3, s3, 0
	s_mul_i32 s2, s48, s2
	s_add_u32 s2, s24, s2
	s_addc_u32 s24, 0, s3
	s_add_u32 s45, s52, s2
	s_cselect_b64 s[2:3], -1, 0
	v_ashrrev_i32_e32 v1, 31, v4
	s_cmp_lg_u64 s[2:3], 0
	v_add_co_u32_e32 v7, vcc, v3, v1
	s_addc_u32 s24, s48, s24
	v_xor_b32_e32 v12, v7, v1
	v_mad_u64_u32 v[7:8], s[2:3], v12, s24, 0
	v_mul_hi_u32 v10, v12, s45
	v_addc_co_u32_e32 v9, vcc, v4, v1, vcc
	v_xor_b32_e32 v13, v9, v1
	v_add_co_u32_e32 v14, vcc, v10, v7
	v_addc_co_u32_e32 v15, vcc, 0, v8, vcc
	v_mad_u64_u32 v[7:8], s[2:3], v13, s45, 0
	v_mad_u64_u32 v[9:10], s[2:3], v13, s24, 0
	v_add_co_u32_e32 v7, vcc, v14, v7
	v_addc_co_u32_e32 v7, vcc, v15, v8, vcc
	v_addc_co_u32_e32 v8, vcc, 0, v10, vcc
	v_add_co_u32_e32 v9, vcc, v7, v9
	v_addc_co_u32_e32 v10, vcc, 0, v8, vcc
	v_mul_lo_u32 v14, s47, v9
	v_mul_lo_u32 v15, s46, v10
	v_mad_u64_u32 v[7:8], s[2:3], s46, v9, 0
	v_xor_b32_e32 v1, s44, v1
	v_add3_u32 v8, v8, v15, v14
	v_sub_u32_e32 v14, v13, v8
	v_mov_b32_e32 v15, s47
	v_sub_co_u32_e32 v7, vcc, v12, v7
	v_subb_co_u32_e64 v12, s[2:3], v14, v15, vcc
	v_subrev_co_u32_e64 v14, s[2:3], s46, v7
	v_subbrev_co_u32_e64 v12, s[2:3], 0, v12, s[2:3]
	v_cmp_le_u32_e64 s[2:3], s47, v12
	v_cndmask_b32_e64 v15, 0, -1, s[2:3]
	v_cmp_le_u32_e64 s[2:3], s46, v14
	v_cndmask_b32_e64 v14, 0, -1, s[2:3]
	v_cmp_eq_u32_e64 s[2:3], s47, v12
	v_cndmask_b32_e64 v12, v15, v14, s[2:3]
	v_add_co_u32_e64 v14, s[2:3], 2, v9
	v_subb_co_u32_e32 v8, vcc, v13, v8, vcc
	v_addc_co_u32_e64 v15, s[2:3], 0, v10, s[2:3]
	v_cmp_le_u32_e32 vcc, s47, v8
	v_add_co_u32_e64 v16, s[2:3], 1, v9
	v_cndmask_b32_e64 v13, 0, -1, vcc
	v_cmp_le_u32_e32 vcc, s46, v7
	v_addc_co_u32_e64 v17, s[2:3], 0, v10, s[2:3]
	v_cndmask_b32_e64 v7, 0, -1, vcc
	v_cmp_eq_u32_e32 vcc, s47, v8
	v_cmp_ne_u32_e64 s[2:3], 0, v12
	v_cndmask_b32_e32 v7, v13, v7, vcc
	v_cndmask_b32_e64 v12, v17, v15, s[2:3]
	v_cmp_ne_u32_e32 vcc, 0, v7
	v_cndmask_b32_e64 v8, v16, v14, s[2:3]
	v_cndmask_b32_e32 v7, v10, v12, vcc
	v_cndmask_b32_e32 v8, v9, v8, vcc
	v_xor_b32_e32 v9, v7, v1
	v_xor_b32_e32 v7, v8, v1
	v_sub_co_u32_e32 v7, vcc, v7, v1
	v_subb_co_u32_e32 v8, vcc, v9, v1, vcc
.LBB9_46:
	s_andn2_saveexec_b64 s[2:3], s[42:43]
	s_cbranch_execz .LBB9_48
; %bb.47:
	v_cvt_f32_u32_e32 v1, s16
	s_sub_i32 s24, 0, s16
	v_rcp_iflag_f32_e32 v1, v1
	v_mul_f32_e32 v1, 0x4f7ffffe, v1
	v_cvt_u32_f32_e32 v1, v1
	v_mul_lo_u32 v7, s24, v1
	v_mul_hi_u32 v7, v1, v7
	v_add_u32_e32 v1, v1, v7
	v_mul_hi_u32 v1, v3, v1
	v_mul_lo_u32 v7, v1, s16
	v_add_u32_e32 v8, 1, v1
	v_sub_u32_e32 v7, v3, v7
	v_subrev_u32_e32 v9, s16, v7
	v_cmp_le_u32_e32 vcc, s16, v7
	v_cndmask_b32_e32 v7, v7, v9, vcc
	v_cndmask_b32_e32 v1, v1, v8, vcc
	v_add_u32_e32 v8, 1, v1
	v_cmp_le_u32_e32 vcc, s16, v7
	v_cndmask_b32_e32 v7, v1, v8, vcc
	v_mov_b32_e32 v8, 0
.LBB9_48:
	s_or_b64 exec, exec, s[2:3]
	v_mul_lo_u32 v1, v6, s16
	v_mul_lo_u32 v12, v5, s17
	v_mad_u64_u32 v[9:10], s[2:3], v5, s16, 0
	v_add3_u32 v10, v10, v12, v1
	v_cmp_gt_i64_e32 vcc, v[9:10], v[3:4]
	v_mov_b32_e32 v1, s15
	v_add_co_u32_e64 v9, s[2:3], s14, v9
	v_addc_co_u32_e64 v10, s[2:3], v10, v1, s[2:3]
	v_cmp_ge_i64_e64 s[2:3], v[3:4], v[9:10]
	s_or_b64 s[2:3], vcc, s[2:3]
	v_cndmask_b32_e64 v1, 0, 1, s[2:3]
	v_add_co_u32_e32 v9, vcc, v5, v1
	v_addc_co_u32_e32 v10, vcc, 0, v6, vcc
	v_cmp_gt_i64_e32 vcc, s[4:5], v[7:8]
	v_mov_b32_e32 v1, s5
	v_cndmask_b32_e32 v6, v1, v8, vcc
	v_mov_b32_e32 v1, s4
	v_cndmask_b32_e32 v5, v1, v7, vcc
	v_cmp_le_i64_e32 vcc, v[9:10], v[5:6]
	s_and_saveexec_b64 s[42:43], vcc
	s_cbranch_execz .LBB9_51
; %bb.49:
	global_load_ushort v12, v2, s[8:9]
	v_mul_lo_u32 v14, s17, v9
	v_mul_lo_u32 v15, s16, v10
	v_mad_u64_u32 v[7:8], s[2:3], s16, v9, 0
	v_mov_b32_e32 v13, s9
	v_add_co_u32_e32 v1, vcc, s8, v2
	v_addc_co_u32_e32 v2, vcc, 0, v13, vcc
	v_add3_u32 v8, v8, v15, v14
	v_sub_co_u32_e32 v3, vcc, v3, v7
	v_subb_co_u32_e32 v4, vcc, v4, v8, vcc
	v_mul_lo_u32 v15, s23, v3
	v_mul_lo_u32 v16, s22, v4
	v_mad_u64_u32 v[7:8], s[2:3], s22, v3, 0
	v_mul_lo_u32 v17, s21, v9
	v_mul_lo_u32 v18, s20, v10
	v_mad_u64_u32 v[13:14], s[2:3], s20, v9, 0
	v_add_co_u32_e32 v3, vcc, -1, v9
	v_add3_u32 v8, v8, v16, v15
	v_add3_u32 v14, v14, v18, v17
	v_addc_co_u32_e32 v4, vcc, -1, v10, vcc
	v_lshlrev_b64 v[7:8], 1, v[7:8]
	v_lshlrev_b64 v[9:10], 1, v[13:14]
	s_mul_i32 s24, s16, s23
	v_add_co_u32_e32 v7, vcc, v7, v9
	s_mul_hi_u32 s44, s16, s22
	v_addc_co_u32_e32 v8, vcc, v8, v10, vcc
	s_add_i32 s24, s44, s24
	s_mul_i32 s44, s17, s22
	v_add_co_u32_e32 v0, vcc, v7, v0
	s_add_i32 s45, s24, s44
	s_mul_i32 s44, s16, s22
	v_addc_co_u32_e32 v8, vcc, 0, v8, vcc
	s_lshl_b64 s[2:3], s[20:21], 1
	s_lshl_b64 s[44:45], s[44:45], 1
	v_mov_b32_e32 v9, s11
	v_add_co_u32_e32 v7, vcc, s10, v0
	s_sub_u32 s24, s2, s44
	v_addc_co_u32_e32 v8, vcc, v9, v8, vcc
	s_subb_u32 s46, s3, s45
	s_mov_b64 s[44:45], 0
.LBB9_50:                               ; =>This Inner Loop Header: Depth=1
	global_load_ushort v0, v[7:8], off
	v_add_co_u32_e32 v3, vcc, 1, v3
	v_addc_co_u32_e32 v4, vcc, 0, v4, vcc
	v_cmp_ge_i64_e64 s[2:3], v[3:4], v[5:6]
	v_mov_b32_e32 v9, s46
	v_add_co_u32_e32 v7, vcc, s24, v7
	v_addc_co_u32_e32 v8, vcc, v8, v9, vcc
	s_or_b64 s[44:45], s[2:3], s[44:45]
	s_waitcnt vmcnt(0)
	v_add_f16_e32 v12, v12, v0
	global_store_short v[1:2], v12, off
	s_andn2_b64 exec, exec, s[44:45]
	s_cbranch_execnz .LBB9_50
.LBB9_51:
	s_or_b64 exec, exec, s[42:43]
	v_add_u32_e32 v11, 0x100, v11
	s_or_b64 exec, exec, s[18:19]
	v_cmp_gt_i32_e32 vcc, s51, v11
	s_and_saveexec_b64 s[18:19], vcc
	s_cbranch_execz .LBB9_3
.LBB9_52:
	s_and_b64 vcc, exec, s[0:1]
	s_cbranch_vccnz .LBB9_59
; %bb.53:
	v_mov_b32_e32 v2, 0
	s_andn2_b64 vcc, exec, s[40:41]
	v_mov_b32_e32 v0, 0
	v_mov_b32_e32 v4, 0
	s_cbranch_vccnz .LBB9_58
; %bb.54:
	s_add_i32 s2, s31, 1
	s_and_b32 s24, s2, 30
	s_add_u32 s2, s33, 0xffffffe8
	s_addc_u32 s3, s50, -1
	v_mov_b32_e32 v4, 0
	v_mov_b32_e32 v0, 0
	;; [unrolled: 1-line block ×4, first 2 shown]
.LBB9_55:                               ; =>This Inner Loop Header: Depth=1
	s_load_dwordx4 s[44:47], s[2:3], 0x1c
	s_load_dwordx2 s[42:43], s[2:3], 0x2c
	s_load_dwordx2 s[48:49], s[2:3], 0xec
	s_load_dwordx4 s[52:55], s[2:3], 0xdc
	s_add_u32 s2, s2, 24
	s_waitcnt lgkmcnt(0)
	v_mul_hi_u32 v3, s45, v1
	s_addc_u32 s3, s3, 0
	s_add_i32 s24, s24, -2
	s_cmp_eq_u32 s24, 0
	v_add_u32_e32 v3, v1, v3
	v_lshrrev_b32_e32 v3, s46, v3
	v_mul_lo_u32 v5, v3, s44
	v_mul_hi_u32 v6, s42, v3
	v_sub_u32_e32 v5, v1, v5
	v_add_u32_e32 v1, v3, v6
	v_lshrrev_b32_e32 v1, s43, v1
	v_mul_lo_u32 v8, v1, s47
	v_mul_lo_u32 v6, v5, s52
	;; [unrolled: 1-line block ×4, first 2 shown]
	v_sub_u32_e32 v3, v3, v8
	v_mul_lo_u32 v8, v3, s55
	v_mul_lo_u32 v9, v3, s48
	;; [unrolled: 1-line block ×3, first 2 shown]
	v_add3_u32 v2, v6, v2, v8
	v_add3_u32 v0, v7, v0, v9
	;; [unrolled: 1-line block ×3, first 2 shown]
	s_cbranch_scc0 .LBB9_55
; %bb.56:
	s_bitcmp1_b32 s31, 0
	s_cselect_b64 s[42:43], -1, 0
	s_and_b64 vcc, exec, s[42:43]
	s_cbranch_vccnz .LBB9_58
; %bb.57:
	s_load_dwordx2 s[42:43], s[2:3], 0x1c
	s_load_dword s24, s[2:3], 0x24
	s_load_dwordx2 s[44:45], s[2:3], 0xdc
	s_waitcnt lgkmcnt(0)
	v_mul_hi_u32 v3, s43, v1
	v_add_u32_e32 v3, v1, v3
	v_lshrrev_b32_e32 v3, s24, v3
	v_mul_lo_u32 v3, v3, s42
	s_load_dword s24, s[2:3], 0xe4
	v_sub_u32_e32 v5, v1, v3
	v_mad_u64_u32 v[2:3], s[2:3], v5, s44, v[2:3]
	v_mad_u64_u32 v[0:1], s[2:3], v5, s45, v[0:1]
	s_waitcnt lgkmcnt(0)
	v_mad_u64_u32 v[4:5], s[2:3], v5, s24, v[4:5]
.LBB9_58:
	s_cbranch_execz .LBB9_60
	s_branch .LBB9_62
.LBB9_59:
                                        ; implicit-def: $vgpr2
                                        ; implicit-def: $vgpr0
                                        ; implicit-def: $vgpr4
.LBB9_60:
	v_mul_hi_u32 v0, s26, v11
	s_andn2_b64 vcc, exec, s[34:35]
	v_add_u32_e32 v0, v11, v0
	v_lshrrev_b32_e32 v1, s27, v0
	v_mul_lo_u32 v0, v1, s25
	v_sub_u32_e32 v3, v11, v0
	v_mul_lo_u32 v2, v3, s36
	v_mul_lo_u32 v0, v3, s37
	v_mul_lo_u32 v4, v3, s38
	s_cbranch_vccnz .LBB9_62
; %bb.61:
	v_mul_hi_u32 v3, s29, v1
	v_add_u32_e32 v3, v1, v3
	v_lshrrev_b32_e32 v3, s30, v3
	v_mul_lo_u32 v3, v3, s28
	v_sub_u32_e32 v5, v1, v3
	v_mad_u64_u32 v[2:3], s[2:3], v5, s39, v[2:3]
	v_mad_u64_u32 v[0:1], s[2:3], v5, s6, v[0:1]
	;; [unrolled: 1-line block ×3, first 2 shown]
.LBB9_62:
	global_load_dwordx2 v[3:4], v4, s[12:13]
	v_mov_b32_e32 v5, 0
	v_mov_b32_e32 v6, 0
	s_waitcnt vmcnt(0)
	v_cmp_lt_i64_e32 vcc, s[14:15], v[3:4]
	s_and_saveexec_b64 s[42:43], vcc
	s_cbranch_execz .LBB9_68
; %bb.63:
	v_mov_b32_e32 v5, s15
	v_subrev_co_u32_e32 v1, vcc, s14, v3
	v_subb_co_u32_e32 v7, vcc, v4, v5, vcc
	v_or_b32_e32 v6, s17, v7
	v_mov_b32_e32 v5, 0
	v_cmp_ne_u64_e32 vcc, 0, v[5:6]
                                        ; implicit-def: $vgpr5_vgpr6
	s_and_saveexec_b64 s[2:3], vcc
	s_xor_b64 s[44:45], exec, s[2:3]
	s_cbranch_execz .LBB9_65
; %bb.64:
	s_ashr_i32 s46, s17, 31
	s_add_u32 s2, s16, s46
	s_mov_b32 s47, s46
	s_addc_u32 s3, s17, s46
	s_xor_b64 s[48:49], s[2:3], s[46:47]
	v_cvt_f32_u32_e32 v5, s48
	v_cvt_f32_u32_e32 v6, s49
	s_sub_u32 s24, 0, s48
	s_subb_u32 s47, 0, s49
	v_ashrrev_i32_e32 v9, 31, v7
	v_madmk_f32 v5, v6, 0x4f800000, v5
	v_rcp_f32_e32 v5, v5
	v_add_co_u32_e32 v1, vcc, v1, v9
	v_xor_b32_e32 v1, v1, v9
	v_mul_f32_e32 v5, 0x5f7ffffc, v5
	v_mul_f32_e32 v6, 0x2f800000, v5
	v_trunc_f32_e32 v6, v6
	v_madmk_f32 v5, v6, 0xcf800000, v5
	v_cvt_u32_f32_e32 v6, v6
	v_cvt_u32_f32_e32 v5, v5
	v_addc_co_u32_e32 v7, vcc, v7, v9, vcc
	v_readfirstlane_b32 s52, v6
	v_readfirstlane_b32 s2, v5
	s_mul_i32 s3, s24, s52
	s_mul_hi_u32 s54, s24, s2
	s_mul_i32 s53, s47, s2
	s_add_i32 s3, s54, s3
	s_add_i32 s3, s3, s53
	s_mul_i32 s55, s24, s2
	s_mul_i32 s54, s2, s3
	s_mul_hi_u32 s56, s2, s55
	s_mul_hi_u32 s53, s2, s3
	s_add_u32 s54, s56, s54
	s_addc_u32 s53, 0, s53
	s_mul_hi_u32 s57, s52, s55
	s_mul_i32 s55, s52, s55
	s_add_u32 s54, s54, s55
	s_mul_hi_u32 s56, s52, s3
	s_addc_u32 s53, s53, s57
	s_addc_u32 s54, s56, 0
	s_mul_i32 s3, s52, s3
	s_add_u32 s3, s53, s3
	s_addc_u32 s53, 0, s54
	s_add_u32 s54, s2, s3
	s_cselect_b64 s[2:3], -1, 0
	s_cmp_lg_u64 s[2:3], 0
	s_addc_u32 s52, s52, s53
	s_mul_i32 s2, s24, s52
	s_mul_hi_u32 s3, s24, s54
	s_add_i32 s2, s3, s2
	s_mul_i32 s47, s47, s54
	s_add_i32 s2, s2, s47
	s_mul_i32 s24, s24, s54
	s_mul_hi_u32 s47, s52, s24
	s_mul_i32 s53, s52, s24
	s_mul_i32 s56, s54, s2
	s_mul_hi_u32 s24, s54, s24
	s_mul_hi_u32 s55, s54, s2
	s_add_u32 s24, s24, s56
	s_addc_u32 s55, 0, s55
	s_add_u32 s24, s24, s53
	s_mul_hi_u32 s3, s52, s2
	s_addc_u32 s24, s55, s47
	s_addc_u32 s3, s3, 0
	s_mul_i32 s2, s52, s2
	s_add_u32 s2, s24, s2
	s_addc_u32 s24, 0, s3
	s_add_u32 s47, s54, s2
	s_cselect_b64 s[2:3], -1, 0
	s_cmp_lg_u64 s[2:3], 0
	s_addc_u32 s24, s52, s24
	v_mad_u64_u32 v[5:6], s[2:3], v1, s24, 0
	v_mul_hi_u32 v8, v1, s47
	v_xor_b32_e32 v10, v7, v9
	v_add_co_u32_e32 v12, vcc, v8, v5
	v_addc_co_u32_e32 v13, vcc, 0, v6, vcc
	v_mad_u64_u32 v[5:6], s[2:3], v10, s47, 0
	v_mad_u64_u32 v[7:8], s[2:3], v10, s24, 0
	v_add_co_u32_e32 v5, vcc, v12, v5
	v_addc_co_u32_e32 v5, vcc, v13, v6, vcc
	v_addc_co_u32_e32 v6, vcc, 0, v8, vcc
	v_add_co_u32_e32 v7, vcc, v5, v7
	v_addc_co_u32_e32 v8, vcc, 0, v6, vcc
	v_mul_lo_u32 v12, s49, v7
	v_mul_lo_u32 v13, s48, v8
	v_mad_u64_u32 v[5:6], s[2:3], s48, v7, 0
	v_add3_u32 v6, v6, v13, v12
	v_sub_u32_e32 v12, v10, v6
	v_mov_b32_e32 v13, s49
	v_sub_co_u32_e32 v1, vcc, v1, v5
	v_subb_co_u32_e64 v5, s[2:3], v12, v13, vcc
	v_subrev_co_u32_e64 v12, s[2:3], s48, v1
	v_subbrev_co_u32_e64 v5, s[2:3], 0, v5, s[2:3]
	v_cmp_le_u32_e64 s[2:3], s49, v5
	v_cndmask_b32_e64 v13, 0, -1, s[2:3]
	v_cmp_le_u32_e64 s[2:3], s48, v12
	v_cndmask_b32_e64 v12, 0, -1, s[2:3]
	v_cmp_eq_u32_e64 s[2:3], s49, v5
	v_cndmask_b32_e64 v5, v13, v12, s[2:3]
	v_add_co_u32_e64 v12, s[2:3], 2, v7
	v_subb_co_u32_e32 v6, vcc, v10, v6, vcc
	v_addc_co_u32_e64 v13, s[2:3], 0, v8, s[2:3]
	v_cmp_le_u32_e32 vcc, s49, v6
	v_add_co_u32_e64 v14, s[2:3], 1, v7
	v_cndmask_b32_e64 v10, 0, -1, vcc
	v_cmp_le_u32_e32 vcc, s48, v1
	v_addc_co_u32_e64 v15, s[2:3], 0, v8, s[2:3]
	v_cndmask_b32_e64 v1, 0, -1, vcc
	v_cmp_eq_u32_e32 vcc, s49, v6
	v_cmp_ne_u32_e64 s[2:3], 0, v5
	v_cndmask_b32_e32 v1, v10, v1, vcc
	v_cndmask_b32_e64 v5, v15, v13, s[2:3]
	v_cmp_ne_u32_e32 vcc, 0, v1
	v_cndmask_b32_e32 v1, v8, v5, vcc
	v_cndmask_b32_e64 v5, v14, v12, s[2:3]
	v_cndmask_b32_e32 v5, v7, v5, vcc
	v_xor_b32_e32 v6, s46, v9
	v_xor_b32_e32 v5, v5, v6
	;; [unrolled: 1-line block ×3, first 2 shown]
	v_sub_co_u32_e32 v5, vcc, v5, v6
	v_subb_co_u32_e32 v6, vcc, v1, v6, vcc
                                        ; implicit-def: $vgpr1
.LBB9_65:
	s_andn2_saveexec_b64 s[2:3], s[44:45]
	s_cbranch_execz .LBB9_67
; %bb.66:
	v_cvt_f32_u32_e32 v5, s16
	s_sub_i32 s24, 0, s16
	v_rcp_iflag_f32_e32 v5, v5
	v_mul_f32_e32 v5, 0x4f7ffffe, v5
	v_cvt_u32_f32_e32 v5, v5
	v_mul_lo_u32 v6, s24, v5
	v_mul_hi_u32 v6, v5, v6
	v_add_u32_e32 v5, v5, v6
	v_mul_hi_u32 v5, v1, v5
	v_mul_lo_u32 v6, v5, s16
	v_add_u32_e32 v7, 1, v5
	v_sub_u32_e32 v1, v1, v6
	v_subrev_u32_e32 v6, s16, v1
	v_cmp_le_u32_e32 vcc, s16, v1
	v_cndmask_b32_e32 v1, v1, v6, vcc
	v_cndmask_b32_e32 v5, v5, v7, vcc
	v_add_u32_e32 v6, 1, v5
	v_cmp_le_u32_e32 vcc, s16, v1
	v_cndmask_b32_e32 v5, v5, v6, vcc
	v_mov_b32_e32 v6, 0
.LBB9_67:
	s_or_b64 exec, exec, s[2:3]
.LBB9_68:
	s_or_b64 exec, exec, s[42:43]
	v_or_b32_e32 v8, s17, v4
	v_mov_b32_e32 v7, 0
	v_cmp_ne_u64_e32 vcc, 0, v[7:8]
                                        ; implicit-def: $vgpr7_vgpr8
	s_and_saveexec_b64 s[2:3], vcc
	s_xor_b64 s[42:43], exec, s[2:3]
	s_cbranch_execz .LBB9_70
; %bb.69:
	s_ashr_i32 s44, s17, 31
	s_add_u32 s2, s16, s44
	s_mov_b32 s45, s44
	s_addc_u32 s3, s17, s44
	s_xor_b64 s[46:47], s[2:3], s[44:45]
	v_cvt_f32_u32_e32 v1, s46
	v_cvt_f32_u32_e32 v7, s47
	s_sub_u32 s24, 0, s46
	s_subb_u32 s45, 0, s47
	v_madmk_f32 v1, v7, 0x4f800000, v1
	v_rcp_f32_e32 v1, v1
	v_mul_f32_e32 v1, 0x5f7ffffc, v1
	v_mul_f32_e32 v7, 0x2f800000, v1
	v_trunc_f32_e32 v7, v7
	v_madmk_f32 v1, v7, 0xcf800000, v1
	v_cvt_u32_f32_e32 v7, v7
	v_cvt_u32_f32_e32 v1, v1
	v_readfirstlane_b32 s48, v7
	v_readfirstlane_b32 s2, v1
	s_mul_i32 s3, s24, s48
	s_mul_hi_u32 s52, s24, s2
	s_mul_i32 s49, s45, s2
	s_add_i32 s3, s52, s3
	s_add_i32 s3, s3, s49
	s_mul_i32 s53, s24, s2
	s_mul_i32 s52, s2, s3
	s_mul_hi_u32 s54, s2, s53
	s_mul_hi_u32 s49, s2, s3
	s_add_u32 s52, s54, s52
	s_addc_u32 s49, 0, s49
	s_mul_hi_u32 s55, s48, s53
	s_mul_i32 s53, s48, s53
	s_add_u32 s52, s52, s53
	s_mul_hi_u32 s54, s48, s3
	s_addc_u32 s49, s49, s55
	s_addc_u32 s52, s54, 0
	s_mul_i32 s3, s48, s3
	s_add_u32 s3, s49, s3
	s_addc_u32 s49, 0, s52
	s_add_u32 s52, s2, s3
	s_cselect_b64 s[2:3], -1, 0
	s_cmp_lg_u64 s[2:3], 0
	s_addc_u32 s48, s48, s49
	s_mul_i32 s2, s24, s48
	s_mul_hi_u32 s3, s24, s52
	s_add_i32 s2, s3, s2
	s_mul_i32 s45, s45, s52
	s_add_i32 s2, s2, s45
	s_mul_i32 s24, s24, s52
	s_mul_hi_u32 s45, s48, s24
	s_mul_i32 s49, s48, s24
	s_mul_i32 s54, s52, s2
	s_mul_hi_u32 s24, s52, s24
	s_mul_hi_u32 s53, s52, s2
	s_add_u32 s24, s24, s54
	s_addc_u32 s53, 0, s53
	s_add_u32 s24, s24, s49
	s_mul_hi_u32 s3, s48, s2
	s_addc_u32 s24, s53, s45
	s_addc_u32 s3, s3, 0
	s_mul_i32 s2, s48, s2
	s_add_u32 s2, s24, s2
	s_addc_u32 s24, 0, s3
	s_add_u32 s45, s52, s2
	s_cselect_b64 s[2:3], -1, 0
	v_ashrrev_i32_e32 v1, 31, v4
	s_cmp_lg_u64 s[2:3], 0
	v_add_co_u32_e32 v7, vcc, v3, v1
	s_addc_u32 s24, s48, s24
	v_xor_b32_e32 v12, v7, v1
	v_mad_u64_u32 v[7:8], s[2:3], v12, s24, 0
	v_mul_hi_u32 v10, v12, s45
	v_addc_co_u32_e32 v9, vcc, v4, v1, vcc
	v_xor_b32_e32 v13, v9, v1
	v_add_co_u32_e32 v14, vcc, v10, v7
	v_addc_co_u32_e32 v15, vcc, 0, v8, vcc
	v_mad_u64_u32 v[7:8], s[2:3], v13, s45, 0
	v_mad_u64_u32 v[9:10], s[2:3], v13, s24, 0
	v_add_co_u32_e32 v7, vcc, v14, v7
	v_addc_co_u32_e32 v7, vcc, v15, v8, vcc
	v_addc_co_u32_e32 v8, vcc, 0, v10, vcc
	v_add_co_u32_e32 v9, vcc, v7, v9
	v_addc_co_u32_e32 v10, vcc, 0, v8, vcc
	v_mul_lo_u32 v14, s47, v9
	v_mul_lo_u32 v15, s46, v10
	v_mad_u64_u32 v[7:8], s[2:3], s46, v9, 0
	v_xor_b32_e32 v1, s44, v1
	v_add3_u32 v8, v8, v15, v14
	v_sub_u32_e32 v14, v13, v8
	v_mov_b32_e32 v15, s47
	v_sub_co_u32_e32 v7, vcc, v12, v7
	v_subb_co_u32_e64 v12, s[2:3], v14, v15, vcc
	v_subrev_co_u32_e64 v14, s[2:3], s46, v7
	v_subbrev_co_u32_e64 v12, s[2:3], 0, v12, s[2:3]
	v_cmp_le_u32_e64 s[2:3], s47, v12
	v_cndmask_b32_e64 v15, 0, -1, s[2:3]
	v_cmp_le_u32_e64 s[2:3], s46, v14
	v_cndmask_b32_e64 v14, 0, -1, s[2:3]
	v_cmp_eq_u32_e64 s[2:3], s47, v12
	v_cndmask_b32_e64 v12, v15, v14, s[2:3]
	v_add_co_u32_e64 v14, s[2:3], 2, v9
	v_subb_co_u32_e32 v8, vcc, v13, v8, vcc
	v_addc_co_u32_e64 v15, s[2:3], 0, v10, s[2:3]
	v_cmp_le_u32_e32 vcc, s47, v8
	v_add_co_u32_e64 v16, s[2:3], 1, v9
	v_cndmask_b32_e64 v13, 0, -1, vcc
	v_cmp_le_u32_e32 vcc, s46, v7
	v_addc_co_u32_e64 v17, s[2:3], 0, v10, s[2:3]
	v_cndmask_b32_e64 v7, 0, -1, vcc
	v_cmp_eq_u32_e32 vcc, s47, v8
	v_cmp_ne_u32_e64 s[2:3], 0, v12
	v_cndmask_b32_e32 v7, v13, v7, vcc
	v_cndmask_b32_e64 v12, v17, v15, s[2:3]
	v_cmp_ne_u32_e32 vcc, 0, v7
	v_cndmask_b32_e64 v8, v16, v14, s[2:3]
	v_cndmask_b32_e32 v7, v10, v12, vcc
	v_cndmask_b32_e32 v8, v9, v8, vcc
	v_xor_b32_e32 v9, v7, v1
	v_xor_b32_e32 v7, v8, v1
	v_sub_co_u32_e32 v7, vcc, v7, v1
	v_subb_co_u32_e32 v8, vcc, v9, v1, vcc
.LBB9_70:
	s_andn2_saveexec_b64 s[2:3], s[42:43]
	s_cbranch_execz .LBB9_72
; %bb.71:
	v_cvt_f32_u32_e32 v1, s16
	s_sub_i32 s24, 0, s16
	v_rcp_iflag_f32_e32 v1, v1
	v_mul_f32_e32 v1, 0x4f7ffffe, v1
	v_cvt_u32_f32_e32 v1, v1
	v_mul_lo_u32 v7, s24, v1
	v_mul_hi_u32 v7, v1, v7
	v_add_u32_e32 v1, v1, v7
	v_mul_hi_u32 v1, v3, v1
	v_mul_lo_u32 v7, v1, s16
	v_add_u32_e32 v8, 1, v1
	v_sub_u32_e32 v7, v3, v7
	v_subrev_u32_e32 v9, s16, v7
	v_cmp_le_u32_e32 vcc, s16, v7
	v_cndmask_b32_e32 v7, v7, v9, vcc
	v_cndmask_b32_e32 v1, v1, v8, vcc
	v_add_u32_e32 v8, 1, v1
	v_cmp_le_u32_e32 vcc, s16, v7
	v_cndmask_b32_e32 v7, v1, v8, vcc
	v_mov_b32_e32 v8, 0
.LBB9_72:
	s_or_b64 exec, exec, s[2:3]
	v_mul_lo_u32 v1, v6, s16
	v_mul_lo_u32 v12, v5, s17
	v_mad_u64_u32 v[9:10], s[2:3], v5, s16, 0
	v_add3_u32 v10, v10, v12, v1
	v_cmp_gt_i64_e32 vcc, v[9:10], v[3:4]
	v_mov_b32_e32 v1, s15
	v_add_co_u32_e64 v9, s[2:3], s14, v9
	v_addc_co_u32_e64 v10, s[2:3], v10, v1, s[2:3]
	v_cmp_ge_i64_e64 s[2:3], v[3:4], v[9:10]
	s_or_b64 s[2:3], vcc, s[2:3]
	v_cndmask_b32_e64 v1, 0, 1, s[2:3]
	v_add_co_u32_e32 v9, vcc, v5, v1
	v_addc_co_u32_e32 v10, vcc, 0, v6, vcc
	v_cmp_gt_i64_e32 vcc, s[4:5], v[7:8]
	v_mov_b32_e32 v1, s5
	v_cndmask_b32_e32 v6, v1, v8, vcc
	v_mov_b32_e32 v1, s4
	v_cndmask_b32_e32 v5, v1, v7, vcc
	v_cmp_le_i64_e32 vcc, v[9:10], v[5:6]
	s_and_saveexec_b64 s[42:43], vcc
	s_cbranch_execz .LBB9_75
; %bb.73:
	global_load_ushort v12, v2, s[8:9]
	v_mul_lo_u32 v14, s17, v9
	v_mul_lo_u32 v15, s16, v10
	v_mad_u64_u32 v[7:8], s[2:3], s16, v9, 0
	v_mov_b32_e32 v13, s9
	v_add_co_u32_e32 v1, vcc, s8, v2
	v_addc_co_u32_e32 v2, vcc, 0, v13, vcc
	v_add3_u32 v8, v8, v15, v14
	v_sub_co_u32_e32 v3, vcc, v3, v7
	v_subb_co_u32_e32 v4, vcc, v4, v8, vcc
	v_mul_lo_u32 v15, s23, v3
	v_mul_lo_u32 v16, s22, v4
	v_mad_u64_u32 v[7:8], s[2:3], s22, v3, 0
	v_mul_lo_u32 v17, s21, v9
	v_mul_lo_u32 v18, s20, v10
	v_mad_u64_u32 v[13:14], s[2:3], s20, v9, 0
	v_add_co_u32_e32 v3, vcc, -1, v9
	v_add3_u32 v8, v8, v16, v15
	v_add3_u32 v14, v14, v18, v17
	v_addc_co_u32_e32 v4, vcc, -1, v10, vcc
	v_lshlrev_b64 v[7:8], 1, v[7:8]
	v_lshlrev_b64 v[9:10], 1, v[13:14]
	s_mul_i32 s24, s16, s23
	v_add_co_u32_e32 v7, vcc, v7, v9
	s_mul_hi_u32 s44, s16, s22
	v_addc_co_u32_e32 v8, vcc, v8, v10, vcc
	s_add_i32 s24, s44, s24
	s_mul_i32 s44, s17, s22
	v_add_co_u32_e32 v0, vcc, v7, v0
	s_add_i32 s45, s24, s44
	s_mul_i32 s44, s16, s22
	v_addc_co_u32_e32 v8, vcc, 0, v8, vcc
	s_lshl_b64 s[2:3], s[20:21], 1
	s_lshl_b64 s[44:45], s[44:45], 1
	v_mov_b32_e32 v9, s11
	v_add_co_u32_e32 v7, vcc, s10, v0
	s_sub_u32 s24, s2, s44
	v_addc_co_u32_e32 v8, vcc, v9, v8, vcc
	s_subb_u32 s46, s3, s45
	s_mov_b64 s[44:45], 0
.LBB9_74:                               ; =>This Inner Loop Header: Depth=1
	global_load_ushort v0, v[7:8], off
	v_add_co_u32_e32 v3, vcc, 1, v3
	v_addc_co_u32_e32 v4, vcc, 0, v4, vcc
	v_cmp_ge_i64_e64 s[2:3], v[3:4], v[5:6]
	v_mov_b32_e32 v9, s46
	v_add_co_u32_e32 v7, vcc, s24, v7
	v_addc_co_u32_e32 v8, vcc, v8, v9, vcc
	s_or_b64 s[44:45], s[2:3], s[44:45]
	s_waitcnt vmcnt(0)
	v_add_f16_e32 v12, v12, v0
	global_store_short v[1:2], v12, off
	s_andn2_b64 exec, exec, s[44:45]
	s_cbranch_execnz .LBB9_74
.LBB9_75:
	s_or_b64 exec, exec, s[42:43]
	v_add_u32_e32 v11, 0x100, v11
	s_or_b64 exec, exec, s[18:19]
	v_cmp_gt_i32_e32 vcc, s51, v11
	s_and_saveexec_b64 s[2:3], vcc
	s_cbranch_execz .LBB9_99
.LBB9_76:
	s_and_b64 vcc, exec, s[0:1]
	s_cbranch_vccnz .LBB9_83
; %bb.77:
	v_mov_b32_e32 v2, 0
	s_andn2_b64 vcc, exec, s[40:41]
	v_mov_b32_e32 v0, 0
	v_mov_b32_e32 v4, 0
	s_cbranch_vccnz .LBB9_82
; %bb.78:
	s_add_i32 s0, s31, 1
	s_and_b32 s2, s0, 30
	s_add_u32 s0, s33, 0xffffffe8
	s_addc_u32 s1, s50, -1
	v_mov_b32_e32 v4, 0
	v_mov_b32_e32 v0, 0
	;; [unrolled: 1-line block ×4, first 2 shown]
.LBB9_79:                               ; =>This Inner Loop Header: Depth=1
	s_load_dwordx4 s[40:43], s[0:1], 0x1c
	s_load_dwordx2 s[18:19], s[0:1], 0x2c
	s_load_dwordx2 s[48:49], s[0:1], 0xec
	s_load_dwordx4 s[44:47], s[0:1], 0xdc
	s_add_u32 s0, s0, 24
	s_waitcnt lgkmcnt(0)
	v_mul_hi_u32 v3, s41, v1
	s_addc_u32 s1, s1, 0
	s_add_i32 s2, s2, -2
	s_cmp_eq_u32 s2, 0
	v_add_u32_e32 v3, v1, v3
	v_lshrrev_b32_e32 v3, s42, v3
	v_mul_lo_u32 v5, v3, s40
	v_mul_hi_u32 v6, s18, v3
	v_sub_u32_e32 v5, v1, v5
	v_add_u32_e32 v1, v3, v6
	v_lshrrev_b32_e32 v1, s19, v1
	v_mul_lo_u32 v8, v1, s43
	v_mul_lo_u32 v6, v5, s44
	;; [unrolled: 1-line block ×4, first 2 shown]
	v_sub_u32_e32 v3, v3, v8
	v_mul_lo_u32 v8, v3, s47
	v_mul_lo_u32 v9, v3, s48
	v_mul_lo_u32 v3, v3, s49
	v_add3_u32 v2, v6, v2, v8
	v_add3_u32 v0, v7, v0, v9
	;; [unrolled: 1-line block ×3, first 2 shown]
	s_cbranch_scc0 .LBB9_79
; %bb.80:
	s_bitcmp1_b32 s31, 0
	s_cselect_b64 s[2:3], -1, 0
	s_and_b64 vcc, exec, s[2:3]
	s_cbranch_vccnz .LBB9_82
; %bb.81:
	s_load_dwordx2 s[2:3], s[0:1], 0x1c
	s_load_dword s24, s[0:1], 0x24
	s_load_dwordx2 s[18:19], s[0:1], 0xdc
	s_waitcnt lgkmcnt(0)
	v_mul_hi_u32 v3, s3, v1
	v_add_u32_e32 v3, v1, v3
	v_lshrrev_b32_e32 v3, s24, v3
	v_mul_lo_u32 v3, v3, s2
	s_load_dword s2, s[0:1], 0xe4
	v_sub_u32_e32 v5, v1, v3
	v_mad_u64_u32 v[2:3], s[0:1], v5, s18, v[2:3]
	v_mad_u64_u32 v[0:1], s[0:1], v5, s19, v[0:1]
	s_waitcnt lgkmcnt(0)
	v_mad_u64_u32 v[4:5], s[0:1], v5, s2, v[4:5]
.LBB9_82:
	s_cbranch_execz .LBB9_84
	s_branch .LBB9_86
.LBB9_83:
                                        ; implicit-def: $vgpr2
                                        ; implicit-def: $vgpr0
                                        ; implicit-def: $vgpr4
.LBB9_84:
	v_mul_hi_u32 v0, s26, v11
	s_andn2_b64 vcc, exec, s[34:35]
	v_add_u32_e32 v0, v11, v0
	v_lshrrev_b32_e32 v1, s27, v0
	v_mul_lo_u32 v0, v1, s25
	v_sub_u32_e32 v3, v11, v0
	v_mul_lo_u32 v2, v3, s36
	v_mul_lo_u32 v0, v3, s37
	;; [unrolled: 1-line block ×3, first 2 shown]
	s_cbranch_vccnz .LBB9_86
; %bb.85:
	v_mul_hi_u32 v3, s29, v1
	v_add_u32_e32 v3, v1, v3
	v_lshrrev_b32_e32 v3, s30, v3
	v_mul_lo_u32 v3, v3, s28
	v_sub_u32_e32 v5, v1, v3
	v_mad_u64_u32 v[2:3], s[0:1], v5, s39, v[2:3]
	v_mad_u64_u32 v[0:1], s[0:1], v5, s6, v[0:1]
	v_mad_u64_u32 v[4:5], s[0:1], v5, s7, v[4:5]
.LBB9_86:
	global_load_dwordx2 v[3:4], v4, s[12:13]
	v_mov_b32_e32 v5, 0
	v_mov_b32_e32 v6, 0
	s_waitcnt vmcnt(0)
	v_cmp_lt_i64_e32 vcc, s[14:15], v[3:4]
	s_and_saveexec_b64 s[2:3], vcc
	s_cbranch_execz .LBB9_92
; %bb.87:
	v_mov_b32_e32 v5, s15
	v_subrev_co_u32_e32 v1, vcc, s14, v3
	v_subb_co_u32_e32 v7, vcc, v4, v5, vcc
	v_or_b32_e32 v6, s17, v7
	v_mov_b32_e32 v5, 0
	v_cmp_ne_u64_e32 vcc, 0, v[5:6]
                                        ; implicit-def: $vgpr5_vgpr6
	s_and_saveexec_b64 s[0:1], vcc
	s_xor_b64 s[6:7], exec, s[0:1]
	s_cbranch_execz .LBB9_89
; %bb.88:
	s_ashr_i32 s12, s17, 31
	s_add_u32 s0, s16, s12
	s_mov_b32 s13, s12
	s_addc_u32 s1, s17, s12
	s_xor_b64 s[18:19], s[0:1], s[12:13]
	v_cvt_f32_u32_e32 v5, s18
	v_cvt_f32_u32_e32 v6, s19
	s_sub_u32 s13, 0, s18
	s_subb_u32 s24, 0, s19
	v_ashrrev_i32_e32 v9, 31, v7
	v_madmk_f32 v5, v6, 0x4f800000, v5
	v_rcp_f32_e32 v5, v5
	v_add_co_u32_e32 v1, vcc, v1, v9
	v_xor_b32_e32 v1, v1, v9
	v_mul_f32_e32 v5, 0x5f7ffffc, v5
	v_mul_f32_e32 v6, 0x2f800000, v5
	v_trunc_f32_e32 v6, v6
	v_madmk_f32 v5, v6, 0xcf800000, v5
	v_cvt_u32_f32_e32 v6, v6
	v_cvt_u32_f32_e32 v5, v5
	v_addc_co_u32_e32 v7, vcc, v7, v9, vcc
	v_readfirstlane_b32 s25, v6
	v_readfirstlane_b32 s0, v5
	s_mul_i32 s1, s13, s25
	s_mul_hi_u32 s27, s13, s0
	s_mul_i32 s26, s24, s0
	s_add_i32 s1, s27, s1
	s_add_i32 s1, s1, s26
	s_mul_i32 s28, s13, s0
	s_mul_i32 s27, s0, s1
	s_mul_hi_u32 s29, s0, s28
	s_mul_hi_u32 s26, s0, s1
	s_add_u32 s27, s29, s27
	s_addc_u32 s26, 0, s26
	s_mul_hi_u32 s30, s25, s28
	s_mul_i32 s28, s25, s28
	s_add_u32 s27, s27, s28
	s_mul_hi_u32 s29, s25, s1
	s_addc_u32 s26, s26, s30
	s_addc_u32 s27, s29, 0
	s_mul_i32 s1, s25, s1
	s_add_u32 s1, s26, s1
	s_addc_u32 s26, 0, s27
	s_add_u32 s27, s0, s1
	s_cselect_b64 s[0:1], -1, 0
	s_cmp_lg_u64 s[0:1], 0
	s_addc_u32 s25, s25, s26
	s_mul_i32 s0, s13, s25
	s_mul_hi_u32 s1, s13, s27
	s_add_i32 s0, s1, s0
	s_mul_i32 s24, s24, s27
	s_add_i32 s0, s0, s24
	s_mul_i32 s13, s13, s27
	s_mul_hi_u32 s24, s25, s13
	s_mul_i32 s26, s25, s13
	s_mul_i32 s29, s27, s0
	s_mul_hi_u32 s13, s27, s13
	s_mul_hi_u32 s28, s27, s0
	s_add_u32 s13, s13, s29
	s_addc_u32 s28, 0, s28
	s_add_u32 s13, s13, s26
	s_mul_hi_u32 s1, s25, s0
	s_addc_u32 s13, s28, s24
	s_addc_u32 s1, s1, 0
	s_mul_i32 s0, s25, s0
	s_add_u32 s0, s13, s0
	s_addc_u32 s13, 0, s1
	s_add_u32 s24, s27, s0
	s_cselect_b64 s[0:1], -1, 0
	s_cmp_lg_u64 s[0:1], 0
	s_addc_u32 s13, s25, s13
	v_mad_u64_u32 v[5:6], s[0:1], v1, s13, 0
	v_mul_hi_u32 v8, v1, s24
	v_xor_b32_e32 v10, v7, v9
	v_add_co_u32_e32 v11, vcc, v8, v5
	v_addc_co_u32_e32 v12, vcc, 0, v6, vcc
	v_mad_u64_u32 v[5:6], s[0:1], v10, s24, 0
	v_mad_u64_u32 v[7:8], s[0:1], v10, s13, 0
	v_add_co_u32_e32 v5, vcc, v11, v5
	v_addc_co_u32_e32 v5, vcc, v12, v6, vcc
	v_addc_co_u32_e32 v6, vcc, 0, v8, vcc
	v_add_co_u32_e32 v7, vcc, v5, v7
	v_addc_co_u32_e32 v8, vcc, 0, v6, vcc
	v_mul_lo_u32 v11, s19, v7
	v_mul_lo_u32 v12, s18, v8
	v_mad_u64_u32 v[5:6], s[0:1], s18, v7, 0
	v_add3_u32 v6, v6, v12, v11
	v_sub_u32_e32 v11, v10, v6
	v_mov_b32_e32 v12, s19
	v_sub_co_u32_e32 v1, vcc, v1, v5
	v_subb_co_u32_e64 v5, s[0:1], v11, v12, vcc
	v_subrev_co_u32_e64 v11, s[0:1], s18, v1
	v_subbrev_co_u32_e64 v5, s[0:1], 0, v5, s[0:1]
	v_cmp_le_u32_e64 s[0:1], s19, v5
	v_cndmask_b32_e64 v12, 0, -1, s[0:1]
	v_cmp_le_u32_e64 s[0:1], s18, v11
	v_cndmask_b32_e64 v11, 0, -1, s[0:1]
	v_cmp_eq_u32_e64 s[0:1], s19, v5
	v_cndmask_b32_e64 v5, v12, v11, s[0:1]
	v_add_co_u32_e64 v11, s[0:1], 2, v7
	v_subb_co_u32_e32 v6, vcc, v10, v6, vcc
	v_addc_co_u32_e64 v12, s[0:1], 0, v8, s[0:1]
	v_cmp_le_u32_e32 vcc, s19, v6
	v_add_co_u32_e64 v13, s[0:1], 1, v7
	v_cndmask_b32_e64 v10, 0, -1, vcc
	v_cmp_le_u32_e32 vcc, s18, v1
	v_addc_co_u32_e64 v14, s[0:1], 0, v8, s[0:1]
	v_cndmask_b32_e64 v1, 0, -1, vcc
	v_cmp_eq_u32_e32 vcc, s19, v6
	v_cmp_ne_u32_e64 s[0:1], 0, v5
	v_cndmask_b32_e32 v1, v10, v1, vcc
	v_cndmask_b32_e64 v5, v14, v12, s[0:1]
	v_cmp_ne_u32_e32 vcc, 0, v1
	v_cndmask_b32_e32 v1, v8, v5, vcc
	v_cndmask_b32_e64 v5, v13, v11, s[0:1]
	v_cndmask_b32_e32 v5, v7, v5, vcc
	v_xor_b32_e32 v6, s12, v9
	v_xor_b32_e32 v5, v5, v6
	;; [unrolled: 1-line block ×3, first 2 shown]
	v_sub_co_u32_e32 v5, vcc, v5, v6
	v_subb_co_u32_e32 v6, vcc, v1, v6, vcc
                                        ; implicit-def: $vgpr1
.LBB9_89:
	s_andn2_saveexec_b64 s[0:1], s[6:7]
	s_cbranch_execz .LBB9_91
; %bb.90:
	v_cvt_f32_u32_e32 v5, s16
	s_sub_i32 s6, 0, s16
	v_rcp_iflag_f32_e32 v5, v5
	v_mul_f32_e32 v5, 0x4f7ffffe, v5
	v_cvt_u32_f32_e32 v5, v5
	v_mul_lo_u32 v6, s6, v5
	v_mul_hi_u32 v6, v5, v6
	v_add_u32_e32 v5, v5, v6
	v_mul_hi_u32 v5, v1, v5
	v_mul_lo_u32 v6, v5, s16
	v_add_u32_e32 v7, 1, v5
	v_sub_u32_e32 v1, v1, v6
	v_subrev_u32_e32 v6, s16, v1
	v_cmp_le_u32_e32 vcc, s16, v1
	v_cndmask_b32_e32 v1, v1, v6, vcc
	v_cndmask_b32_e32 v5, v5, v7, vcc
	v_add_u32_e32 v6, 1, v5
	v_cmp_le_u32_e32 vcc, s16, v1
	v_cndmask_b32_e32 v5, v5, v6, vcc
	v_mov_b32_e32 v6, 0
.LBB9_91:
	s_or_b64 exec, exec, s[0:1]
.LBB9_92:
	s_or_b64 exec, exec, s[2:3]
	v_or_b32_e32 v8, s17, v4
	v_mov_b32_e32 v7, 0
	v_cmp_ne_u64_e32 vcc, 0, v[7:8]
                                        ; implicit-def: $vgpr7_vgpr8
	s_and_saveexec_b64 s[0:1], vcc
	s_xor_b64 s[2:3], exec, s[0:1]
	s_cbranch_execz .LBB9_94
; %bb.93:
	s_ashr_i32 s6, s17, 31
	s_add_u32 s0, s16, s6
	s_mov_b32 s7, s6
	s_addc_u32 s1, s17, s6
	s_xor_b64 s[12:13], s[0:1], s[6:7]
	v_cvt_f32_u32_e32 v1, s12
	v_cvt_f32_u32_e32 v7, s13
	s_sub_u32 s7, 0, s12
	s_subb_u32 s18, 0, s13
	v_madmk_f32 v1, v7, 0x4f800000, v1
	v_rcp_f32_e32 v1, v1
	v_mul_f32_e32 v1, 0x5f7ffffc, v1
	v_mul_f32_e32 v7, 0x2f800000, v1
	v_trunc_f32_e32 v7, v7
	v_madmk_f32 v1, v7, 0xcf800000, v1
	v_cvt_u32_f32_e32 v7, v7
	v_cvt_u32_f32_e32 v1, v1
	v_readfirstlane_b32 s19, v7
	v_readfirstlane_b32 s0, v1
	s_mul_i32 s1, s7, s19
	s_mul_hi_u32 s25, s7, s0
	s_mul_i32 s24, s18, s0
	s_add_i32 s1, s25, s1
	s_add_i32 s1, s1, s24
	s_mul_i32 s26, s7, s0
	s_mul_i32 s25, s0, s1
	s_mul_hi_u32 s27, s0, s26
	s_mul_hi_u32 s24, s0, s1
	s_add_u32 s25, s27, s25
	s_addc_u32 s24, 0, s24
	s_mul_hi_u32 s28, s19, s26
	s_mul_i32 s26, s19, s26
	s_add_u32 s25, s25, s26
	s_mul_hi_u32 s27, s19, s1
	s_addc_u32 s24, s24, s28
	s_addc_u32 s25, s27, 0
	s_mul_i32 s1, s19, s1
	s_add_u32 s1, s24, s1
	s_addc_u32 s24, 0, s25
	s_add_u32 s25, s0, s1
	s_cselect_b64 s[0:1], -1, 0
	s_cmp_lg_u64 s[0:1], 0
	s_addc_u32 s19, s19, s24
	s_mul_i32 s0, s7, s19
	s_mul_hi_u32 s1, s7, s25
	s_add_i32 s0, s1, s0
	s_mul_i32 s18, s18, s25
	s_add_i32 s0, s0, s18
	s_mul_i32 s7, s7, s25
	s_mul_hi_u32 s18, s19, s7
	s_mul_i32 s24, s19, s7
	s_mul_i32 s27, s25, s0
	s_mul_hi_u32 s7, s25, s7
	s_mul_hi_u32 s26, s25, s0
	s_add_u32 s7, s7, s27
	s_addc_u32 s26, 0, s26
	s_add_u32 s7, s7, s24
	s_mul_hi_u32 s1, s19, s0
	s_addc_u32 s7, s26, s18
	s_addc_u32 s1, s1, 0
	s_mul_i32 s0, s19, s0
	s_add_u32 s0, s7, s0
	s_addc_u32 s7, 0, s1
	s_add_u32 s18, s25, s0
	s_cselect_b64 s[0:1], -1, 0
	v_ashrrev_i32_e32 v1, 31, v4
	s_cmp_lg_u64 s[0:1], 0
	v_add_co_u32_e32 v7, vcc, v3, v1
	s_addc_u32 s7, s19, s7
	v_xor_b32_e32 v11, v7, v1
	v_mad_u64_u32 v[7:8], s[0:1], v11, s7, 0
	v_mul_hi_u32 v10, v11, s18
	v_addc_co_u32_e32 v9, vcc, v4, v1, vcc
	v_xor_b32_e32 v12, v9, v1
	v_add_co_u32_e32 v13, vcc, v10, v7
	v_addc_co_u32_e32 v14, vcc, 0, v8, vcc
	v_mad_u64_u32 v[7:8], s[0:1], v12, s18, 0
	v_mad_u64_u32 v[9:10], s[0:1], v12, s7, 0
	v_add_co_u32_e32 v7, vcc, v13, v7
	v_addc_co_u32_e32 v7, vcc, v14, v8, vcc
	v_addc_co_u32_e32 v8, vcc, 0, v10, vcc
	v_add_co_u32_e32 v9, vcc, v7, v9
	v_addc_co_u32_e32 v10, vcc, 0, v8, vcc
	v_mul_lo_u32 v13, s13, v9
	v_mul_lo_u32 v14, s12, v10
	v_mad_u64_u32 v[7:8], s[0:1], s12, v9, 0
	v_xor_b32_e32 v1, s6, v1
	v_add3_u32 v8, v8, v14, v13
	v_sub_u32_e32 v13, v12, v8
	v_mov_b32_e32 v14, s13
	v_sub_co_u32_e32 v7, vcc, v11, v7
	v_subb_co_u32_e64 v11, s[0:1], v13, v14, vcc
	v_subrev_co_u32_e64 v13, s[0:1], s12, v7
	v_subbrev_co_u32_e64 v11, s[0:1], 0, v11, s[0:1]
	v_cmp_le_u32_e64 s[0:1], s13, v11
	v_cndmask_b32_e64 v14, 0, -1, s[0:1]
	v_cmp_le_u32_e64 s[0:1], s12, v13
	v_cndmask_b32_e64 v13, 0, -1, s[0:1]
	v_cmp_eq_u32_e64 s[0:1], s13, v11
	v_cndmask_b32_e64 v11, v14, v13, s[0:1]
	v_add_co_u32_e64 v13, s[0:1], 2, v9
	v_subb_co_u32_e32 v8, vcc, v12, v8, vcc
	v_addc_co_u32_e64 v14, s[0:1], 0, v10, s[0:1]
	v_cmp_le_u32_e32 vcc, s13, v8
	v_add_co_u32_e64 v15, s[0:1], 1, v9
	v_cndmask_b32_e64 v12, 0, -1, vcc
	v_cmp_le_u32_e32 vcc, s12, v7
	v_addc_co_u32_e64 v16, s[0:1], 0, v10, s[0:1]
	v_cndmask_b32_e64 v7, 0, -1, vcc
	v_cmp_eq_u32_e32 vcc, s13, v8
	v_cmp_ne_u32_e64 s[0:1], 0, v11
	v_cndmask_b32_e32 v7, v12, v7, vcc
	v_cndmask_b32_e64 v11, v16, v14, s[0:1]
	v_cmp_ne_u32_e32 vcc, 0, v7
	v_cndmask_b32_e64 v8, v15, v13, s[0:1]
	v_cndmask_b32_e32 v7, v10, v11, vcc
	v_cndmask_b32_e32 v8, v9, v8, vcc
	v_xor_b32_e32 v9, v7, v1
	v_xor_b32_e32 v7, v8, v1
	v_sub_co_u32_e32 v7, vcc, v7, v1
	v_subb_co_u32_e32 v8, vcc, v9, v1, vcc
.LBB9_94:
	s_andn2_saveexec_b64 s[0:1], s[2:3]
	s_cbranch_execz .LBB9_96
; %bb.95:
	v_cvt_f32_u32_e32 v1, s16
	s_sub_i32 s2, 0, s16
	v_rcp_iflag_f32_e32 v1, v1
	v_mul_f32_e32 v1, 0x4f7ffffe, v1
	v_cvt_u32_f32_e32 v1, v1
	v_mul_lo_u32 v7, s2, v1
	v_mul_hi_u32 v7, v1, v7
	v_add_u32_e32 v1, v1, v7
	v_mul_hi_u32 v1, v3, v1
	v_mul_lo_u32 v7, v1, s16
	v_add_u32_e32 v8, 1, v1
	v_sub_u32_e32 v7, v3, v7
	v_subrev_u32_e32 v9, s16, v7
	v_cmp_le_u32_e32 vcc, s16, v7
	v_cndmask_b32_e32 v7, v7, v9, vcc
	v_cndmask_b32_e32 v1, v1, v8, vcc
	v_add_u32_e32 v8, 1, v1
	v_cmp_le_u32_e32 vcc, s16, v7
	v_cndmask_b32_e32 v7, v1, v8, vcc
	v_mov_b32_e32 v8, 0
.LBB9_96:
	s_or_b64 exec, exec, s[0:1]
	v_mul_lo_u32 v1, v6, s16
	v_mul_lo_u32 v11, v5, s17
	v_mad_u64_u32 v[9:10], s[0:1], v5, s16, 0
	v_add3_u32 v10, v10, v11, v1
	v_cmp_gt_i64_e32 vcc, v[9:10], v[3:4]
	v_mov_b32_e32 v1, s15
	v_add_co_u32_e64 v9, s[0:1], s14, v9
	v_addc_co_u32_e64 v10, s[0:1], v10, v1, s[0:1]
	v_cmp_ge_i64_e64 s[0:1], v[3:4], v[9:10]
	s_or_b64 s[0:1], vcc, s[0:1]
	v_cndmask_b32_e64 v1, 0, 1, s[0:1]
	v_add_co_u32_e32 v9, vcc, v5, v1
	v_addc_co_u32_e32 v10, vcc, 0, v6, vcc
	v_cmp_gt_i64_e32 vcc, s[4:5], v[7:8]
	v_mov_b32_e32 v1, s5
	v_cndmask_b32_e32 v6, v1, v8, vcc
	v_mov_b32_e32 v1, s4
	v_cndmask_b32_e32 v5, v1, v7, vcc
	v_cmp_le_i64_e32 vcc, v[9:10], v[5:6]
	s_and_b64 exec, exec, vcc
	s_cbranch_execz .LBB9_99
; %bb.97:
	global_load_ushort v11, v2, s[8:9]
	v_mul_lo_u32 v13, s17, v9
	v_mul_lo_u32 v14, s16, v10
	v_mad_u64_u32 v[7:8], s[0:1], s16, v9, 0
	v_mov_b32_e32 v12, s9
	v_add_co_u32_e32 v1, vcc, s8, v2
	v_addc_co_u32_e32 v2, vcc, 0, v12, vcc
	v_add3_u32 v8, v8, v14, v13
	v_sub_co_u32_e32 v3, vcc, v3, v7
	v_subb_co_u32_e32 v4, vcc, v4, v8, vcc
	v_mul_lo_u32 v14, s23, v3
	v_mul_lo_u32 v15, s22, v4
	v_mad_u64_u32 v[7:8], s[0:1], s22, v3, 0
	v_mul_lo_u32 v16, s21, v9
	v_mul_lo_u32 v17, s20, v10
	v_mad_u64_u32 v[12:13], s[0:1], s20, v9, 0
	v_add_co_u32_e32 v3, vcc, -1, v9
	v_add3_u32 v8, v8, v15, v14
	v_add3_u32 v13, v13, v17, v16
	v_addc_co_u32_e32 v4, vcc, -1, v10, vcc
	v_lshlrev_b64 v[7:8], 1, v[7:8]
	v_lshlrev_b64 v[9:10], 1, v[12:13]
	s_mul_i32 s2, s16, s23
	v_add_co_u32_e32 v7, vcc, v7, v9
	s_mul_hi_u32 s3, s16, s22
	v_addc_co_u32_e32 v8, vcc, v8, v10, vcc
	s_add_i32 s2, s3, s2
	s_mul_i32 s3, s17, s22
	v_add_co_u32_e32 v0, vcc, v7, v0
	s_add_i32 s3, s2, s3
	s_mul_i32 s2, s16, s22
	v_addc_co_u32_e32 v8, vcc, 0, v8, vcc
	s_lshl_b64 s[0:1], s[20:21], 1
	s_lshl_b64 s[2:3], s[2:3], 1
	v_mov_b32_e32 v9, s11
	v_add_co_u32_e32 v7, vcc, s10, v0
	s_sub_u32 s4, s0, s2
	v_addc_co_u32_e32 v8, vcc, v9, v8, vcc
	s_subb_u32 s5, s1, s3
	s_mov_b64 s[2:3], 0
.LBB9_98:                               ; =>This Inner Loop Header: Depth=1
	global_load_ushort v0, v[7:8], off
	v_add_co_u32_e32 v3, vcc, 1, v3
	v_addc_co_u32_e32 v4, vcc, 0, v4, vcc
	v_cmp_ge_i64_e64 s[0:1], v[3:4], v[5:6]
	v_mov_b32_e32 v9, s5
	v_add_co_u32_e32 v7, vcc, s4, v7
	v_addc_co_u32_e32 v8, vcc, v8, v9, vcc
	s_or_b64 s[2:3], s[0:1], s[2:3]
	s_waitcnt vmcnt(0)
	v_add_f16_e32 v11, v11, v0
	global_store_short v[1:2], v11, off
	s_andn2_b64 exec, exec, s[2:3]
	s_cbranch_execnz .LBB9_98
.LBB9_99:
	s_endpgm
	.section	.rodata,"a",@progbits
	.p2align	6, 0x0
	.amdhsa_kernel _ZN2at6native12_GLOBAL__N_135_unfold_backward_elementwise_kernelILi256ELi4EZNS1_32_unfold_backward_internal_kernelIN3c104HalfEEEvRNS_14TensorIteratorEllllllEUliE_EEviT1_
		.amdhsa_group_segment_fixed_size 0
		.amdhsa_private_segment_fixed_size 0
		.amdhsa_kernarg_size 464
		.amdhsa_user_sgpr_count 6
		.amdhsa_user_sgpr_private_segment_buffer 1
		.amdhsa_user_sgpr_dispatch_ptr 0
		.amdhsa_user_sgpr_queue_ptr 0
		.amdhsa_user_sgpr_kernarg_segment_ptr 1
		.amdhsa_user_sgpr_dispatch_id 0
		.amdhsa_user_sgpr_flat_scratch_init 0
		.amdhsa_user_sgpr_private_segment_size 0
		.amdhsa_uses_dynamic_stack 0
		.amdhsa_system_sgpr_private_segment_wavefront_offset 0
		.amdhsa_system_sgpr_workgroup_id_x 1
		.amdhsa_system_sgpr_workgroup_id_y 0
		.amdhsa_system_sgpr_workgroup_id_z 0
		.amdhsa_system_sgpr_workgroup_info 0
		.amdhsa_system_vgpr_workitem_id 0
		.amdhsa_next_free_vgpr 19
		.amdhsa_next_free_sgpr 58
		.amdhsa_reserve_vcc 1
		.amdhsa_reserve_flat_scratch 0
		.amdhsa_float_round_mode_32 0
		.amdhsa_float_round_mode_16_64 0
		.amdhsa_float_denorm_mode_32 3
		.amdhsa_float_denorm_mode_16_64 3
		.amdhsa_dx10_clamp 1
		.amdhsa_ieee_mode 1
		.amdhsa_fp16_overflow 0
		.amdhsa_exception_fp_ieee_invalid_op 0
		.amdhsa_exception_fp_denorm_src 0
		.amdhsa_exception_fp_ieee_div_zero 0
		.amdhsa_exception_fp_ieee_overflow 0
		.amdhsa_exception_fp_ieee_underflow 0
		.amdhsa_exception_fp_ieee_inexact 0
		.amdhsa_exception_int_div_zero 0
	.end_amdhsa_kernel
	.section	.text._ZN2at6native12_GLOBAL__N_135_unfold_backward_elementwise_kernelILi256ELi4EZNS1_32_unfold_backward_internal_kernelIN3c104HalfEEEvRNS_14TensorIteratorEllllllEUliE_EEviT1_,"axG",@progbits,_ZN2at6native12_GLOBAL__N_135_unfold_backward_elementwise_kernelILi256ELi4EZNS1_32_unfold_backward_internal_kernelIN3c104HalfEEEvRNS_14TensorIteratorEllllllEUliE_EEviT1_,comdat
.Lfunc_end9:
	.size	_ZN2at6native12_GLOBAL__N_135_unfold_backward_elementwise_kernelILi256ELi4EZNS1_32_unfold_backward_internal_kernelIN3c104HalfEEEvRNS_14TensorIteratorEllllllEUliE_EEviT1_, .Lfunc_end9-_ZN2at6native12_GLOBAL__N_135_unfold_backward_elementwise_kernelILi256ELi4EZNS1_32_unfold_backward_internal_kernelIN3c104HalfEEEvRNS_14TensorIteratorEllllllEUliE_EEviT1_
                                        ; -- End function
	.set _ZN2at6native12_GLOBAL__N_135_unfold_backward_elementwise_kernelILi256ELi4EZNS1_32_unfold_backward_internal_kernelIN3c104HalfEEEvRNS_14TensorIteratorEllllllEUliE_EEviT1_.num_vgpr, 19
	.set _ZN2at6native12_GLOBAL__N_135_unfold_backward_elementwise_kernelILi256ELi4EZNS1_32_unfold_backward_internal_kernelIN3c104HalfEEEvRNS_14TensorIteratorEllllllEUliE_EEviT1_.num_agpr, 0
	.set _ZN2at6native12_GLOBAL__N_135_unfold_backward_elementwise_kernelILi256ELi4EZNS1_32_unfold_backward_internal_kernelIN3c104HalfEEEvRNS_14TensorIteratorEllllllEUliE_EEviT1_.numbered_sgpr, 58
	.set _ZN2at6native12_GLOBAL__N_135_unfold_backward_elementwise_kernelILi256ELi4EZNS1_32_unfold_backward_internal_kernelIN3c104HalfEEEvRNS_14TensorIteratorEllllllEUliE_EEviT1_.num_named_barrier, 0
	.set _ZN2at6native12_GLOBAL__N_135_unfold_backward_elementwise_kernelILi256ELi4EZNS1_32_unfold_backward_internal_kernelIN3c104HalfEEEvRNS_14TensorIteratorEllllllEUliE_EEviT1_.private_seg_size, 0
	.set _ZN2at6native12_GLOBAL__N_135_unfold_backward_elementwise_kernelILi256ELi4EZNS1_32_unfold_backward_internal_kernelIN3c104HalfEEEvRNS_14TensorIteratorEllllllEUliE_EEviT1_.uses_vcc, 1
	.set _ZN2at6native12_GLOBAL__N_135_unfold_backward_elementwise_kernelILi256ELi4EZNS1_32_unfold_backward_internal_kernelIN3c104HalfEEEvRNS_14TensorIteratorEllllllEUliE_EEviT1_.uses_flat_scratch, 0
	.set _ZN2at6native12_GLOBAL__N_135_unfold_backward_elementwise_kernelILi256ELi4EZNS1_32_unfold_backward_internal_kernelIN3c104HalfEEEvRNS_14TensorIteratorEllllllEUliE_EEviT1_.has_dyn_sized_stack, 0
	.set _ZN2at6native12_GLOBAL__N_135_unfold_backward_elementwise_kernelILi256ELi4EZNS1_32_unfold_backward_internal_kernelIN3c104HalfEEEvRNS_14TensorIteratorEllllllEUliE_EEviT1_.has_recursion, 0
	.set _ZN2at6native12_GLOBAL__N_135_unfold_backward_elementwise_kernelILi256ELi4EZNS1_32_unfold_backward_internal_kernelIN3c104HalfEEEvRNS_14TensorIteratorEllllllEUliE_EEviT1_.has_indirect_call, 0
	.section	.AMDGPU.csdata,"",@progbits
; Kernel info:
; codeLenInByte = 9960
; TotalNumSgprs: 62
; NumVgprs: 19
; ScratchSize: 0
; MemoryBound: 0
; FloatMode: 240
; IeeeMode: 1
; LDSByteSize: 0 bytes/workgroup (compile time only)
; SGPRBlocks: 7
; VGPRBlocks: 4
; NumSGPRsForWavesPerEU: 62
; NumVGPRsForWavesPerEU: 19
; Occupancy: 10
; WaveLimiterHint : 1
; COMPUTE_PGM_RSRC2:SCRATCH_EN: 0
; COMPUTE_PGM_RSRC2:USER_SGPR: 6
; COMPUTE_PGM_RSRC2:TRAP_HANDLER: 0
; COMPUTE_PGM_RSRC2:TGID_X_EN: 1
; COMPUTE_PGM_RSRC2:TGID_Y_EN: 0
; COMPUTE_PGM_RSRC2:TGID_Z_EN: 0
; COMPUTE_PGM_RSRC2:TIDIG_COMP_CNT: 0
	.section	.text._ZN2at6native12_GLOBAL__N_135_unfold_backward_elementwise_kernelILi256ELi4EZNS1_32_unfold_backward_internal_kernelIbEEvRNS_14TensorIteratorEllllllEUliE_EEviT1_,"axG",@progbits,_ZN2at6native12_GLOBAL__N_135_unfold_backward_elementwise_kernelILi256ELi4EZNS1_32_unfold_backward_internal_kernelIbEEvRNS_14TensorIteratorEllllllEUliE_EEviT1_,comdat
	.globl	_ZN2at6native12_GLOBAL__N_135_unfold_backward_elementwise_kernelILi256ELi4EZNS1_32_unfold_backward_internal_kernelIbEEvRNS_14TensorIteratorEllllllEUliE_EEviT1_ ; -- Begin function _ZN2at6native12_GLOBAL__N_135_unfold_backward_elementwise_kernelILi256ELi4EZNS1_32_unfold_backward_internal_kernelIbEEvRNS_14TensorIteratorEllllllEUliE_EEviT1_
	.p2align	8
	.type	_ZN2at6native12_GLOBAL__N_135_unfold_backward_elementwise_kernelILi256ELi4EZNS1_32_unfold_backward_internal_kernelIbEEvRNS_14TensorIteratorEllllllEUliE_EEviT1_,@function
_ZN2at6native12_GLOBAL__N_135_unfold_backward_elementwise_kernelILi256ELi4EZNS1_32_unfold_backward_internal_kernelIbEEvRNS_14TensorIteratorEllllllEUliE_EEviT1_: ; @_ZN2at6native12_GLOBAL__N_135_unfold_backward_elementwise_kernelILi256ELi4EZNS1_32_unfold_backward_internal_kernelIbEEvRNS_14TensorIteratorEllllllEUliE_EEviT1_
; %bb.0:
	s_load_dword s51, s[4:5], 0x0
	s_load_dwordx8 s[24:31], s[4:5], 0x8
	s_add_u32 s33, s4, 8
	v_lshl_or_b32 v11, s6, 10, v0
	s_addc_u32 s50, s5, 0
	s_load_dwordx16 s[8:23], s[4:5], 0x190
	s_load_dwordx4 s[36:39], s[4:5], 0xcc
	s_load_dwordx2 s[6:7], s[4:5], 0xdc
	s_waitcnt lgkmcnt(0)
	v_sub_co_u32_e64 v0, s[0:1], s24, 1
	s_xor_b64 s[40:41], s[0:1], -1
	v_readfirstlane_b32 s0, v0
	s_min_u32 s31, s0, 15
	s_cmp_gt_u32 s24, 1
	v_cmp_lt_u32_e64 s[0:1], 1, v0
	s_cselect_b64 s[34:35], -1, 0
	s_add_u32 s4, s18, -1
	v_cndmask_b32_e64 v0, 0, 1, s[0:1]
	s_mov_b64 s[2:3], -1
	s_addc_u32 s5, s19, -1
	v_cmp_gt_i32_e32 vcc, s51, v11
	v_cmp_ne_u32_e64 s[0:1], 1, v0
	s_and_saveexec_b64 s[18:19], vcc
	s_cbranch_execnz .LBB10_4
; %bb.1:
	s_or_b64 exec, exec, s[18:19]
	v_cmp_gt_i32_e32 vcc, s51, v11
	s_and_saveexec_b64 s[18:19], vcc
	s_cbranch_execnz .LBB10_28
.LBB10_2:
	s_or_b64 exec, exec, s[18:19]
	v_cmp_gt_i32_e32 vcc, s51, v11
	s_and_saveexec_b64 s[18:19], vcc
	s_cbranch_execnz .LBB10_52
.LBB10_3:
	s_or_b64 exec, exec, s[18:19]
	v_cmp_gt_i32_e32 vcc, s51, v11
	s_and_saveexec_b64 s[2:3], vcc
	s_cbranch_execnz .LBB10_76
	s_branch .LBB10_99
.LBB10_4:
	s_and_b64 vcc, exec, s[0:1]
                                        ; implicit-def: $vgpr2
                                        ; implicit-def: $vgpr0
                                        ; implicit-def: $vgpr4
	s_cbranch_vccnz .LBB10_11
; %bb.5:
	v_mov_b32_e32 v2, 0
	s_andn2_b64 vcc, exec, s[40:41]
	v_mov_b32_e32 v0, 0
	v_mov_b32_e32 v4, 0
	s_cbranch_vccnz .LBB10_10
; %bb.6:
	s_add_i32 s2, s31, 1
	s_and_b32 s24, s2, 30
	s_add_u32 s2, s33, 0xffffffe8
	s_addc_u32 s3, s50, -1
	v_mov_b32_e32 v4, 0
	v_mov_b32_e32 v0, 0
	;; [unrolled: 1-line block ×4, first 2 shown]
.LBB10_7:                               ; =>This Inner Loop Header: Depth=1
	s_load_dwordx4 s[44:47], s[2:3], 0x1c
	s_load_dwordx2 s[42:43], s[2:3], 0x2c
	s_load_dwordx2 s[48:49], s[2:3], 0xec
	s_load_dwordx4 s[52:55], s[2:3], 0xdc
	s_add_u32 s2, s2, 24
	s_waitcnt lgkmcnt(0)
	v_mul_hi_u32 v3, s45, v1
	s_addc_u32 s3, s3, 0
	s_add_i32 s24, s24, -2
	s_cmp_lg_u32 s24, 0
	v_add_u32_e32 v3, v1, v3
	v_lshrrev_b32_e32 v3, s46, v3
	v_mul_lo_u32 v5, v3, s44
	v_mul_hi_u32 v6, s42, v3
	v_sub_u32_e32 v5, v1, v5
	v_add_u32_e32 v1, v3, v6
	v_lshrrev_b32_e32 v1, s43, v1
	v_mul_lo_u32 v8, v1, s47
	v_mul_lo_u32 v6, v5, s52
	;; [unrolled: 1-line block ×4, first 2 shown]
	v_sub_u32_e32 v3, v3, v8
	v_mul_lo_u32 v8, v3, s55
	v_mul_lo_u32 v9, v3, s48
	;; [unrolled: 1-line block ×3, first 2 shown]
	v_add3_u32 v2, v6, v2, v8
	v_add3_u32 v0, v7, v0, v9
	;; [unrolled: 1-line block ×3, first 2 shown]
	s_cbranch_scc1 .LBB10_7
; %bb.8:
	s_bitcmp1_b32 s31, 0
	s_cselect_b64 s[42:43], -1, 0
	s_and_b64 vcc, exec, s[42:43]
	s_cbranch_vccnz .LBB10_10
; %bb.9:
	s_load_dwordx2 s[42:43], s[2:3], 0x1c
	s_load_dword s24, s[2:3], 0x24
	s_load_dwordx2 s[44:45], s[2:3], 0xdc
	s_waitcnt lgkmcnt(0)
	v_mul_hi_u32 v3, s43, v1
	v_add_u32_e32 v3, v1, v3
	v_lshrrev_b32_e32 v3, s24, v3
	v_mul_lo_u32 v3, v3, s42
	s_load_dword s24, s[2:3], 0xe4
	v_sub_u32_e32 v5, v1, v3
	v_mad_u64_u32 v[2:3], s[2:3], v5, s44, v[2:3]
	v_mad_u64_u32 v[0:1], s[2:3], v5, s45, v[0:1]
	s_waitcnt lgkmcnt(0)
	v_mad_u64_u32 v[4:5], s[2:3], v5, s24, v[4:5]
.LBB10_10:
	s_mov_b64 s[2:3], 0
.LBB10_11:
	s_andn2_b64 vcc, exec, s[2:3]
	s_cbranch_vccnz .LBB10_14
; %bb.12:
	v_mul_hi_u32 v0, s26, v11
	s_andn2_b64 vcc, exec, s[34:35]
	v_add_u32_e32 v0, v11, v0
	v_lshrrev_b32_e32 v1, s27, v0
	v_mul_lo_u32 v0, v1, s25
	v_sub_u32_e32 v3, v11, v0
	v_mul_lo_u32 v2, v3, s36
	v_mul_lo_u32 v0, v3, s37
	;; [unrolled: 1-line block ×3, first 2 shown]
	s_cbranch_vccnz .LBB10_14
; %bb.13:
	v_mul_hi_u32 v3, s29, v1
	v_add_u32_e32 v3, v1, v3
	v_lshrrev_b32_e32 v3, s30, v3
	v_mul_lo_u32 v3, v3, s28
	v_sub_u32_e32 v5, v1, v3
	v_mad_u64_u32 v[2:3], s[2:3], v5, s39, v[2:3]
	v_mad_u64_u32 v[0:1], s[2:3], v5, s6, v[0:1]
	;; [unrolled: 1-line block ×3, first 2 shown]
.LBB10_14:
	global_load_dwordx2 v[3:4], v4, s[12:13]
	v_mov_b32_e32 v5, 0
	v_mov_b32_e32 v6, 0
	s_waitcnt vmcnt(0)
	v_cmp_lt_i64_e32 vcc, s[14:15], v[3:4]
	s_and_saveexec_b64 s[42:43], vcc
	s_cbranch_execz .LBB10_20
; %bb.15:
	v_mov_b32_e32 v5, s15
	v_subrev_co_u32_e32 v1, vcc, s14, v3
	v_subb_co_u32_e32 v7, vcc, v4, v5, vcc
	v_or_b32_e32 v6, s17, v7
	v_mov_b32_e32 v5, 0
	v_cmp_ne_u64_e32 vcc, 0, v[5:6]
                                        ; implicit-def: $vgpr5_vgpr6
	s_and_saveexec_b64 s[2:3], vcc
	s_xor_b64 s[44:45], exec, s[2:3]
	s_cbranch_execz .LBB10_17
; %bb.16:
	s_ashr_i32 s46, s17, 31
	s_add_u32 s2, s16, s46
	s_mov_b32 s47, s46
	s_addc_u32 s3, s17, s46
	s_xor_b64 s[48:49], s[2:3], s[46:47]
	v_cvt_f32_u32_e32 v5, s48
	v_cvt_f32_u32_e32 v6, s49
	s_sub_u32 s24, 0, s48
	s_subb_u32 s47, 0, s49
	v_ashrrev_i32_e32 v9, 31, v7
	v_madmk_f32 v5, v6, 0x4f800000, v5
	v_rcp_f32_e32 v5, v5
	v_add_co_u32_e32 v1, vcc, v1, v9
	v_xor_b32_e32 v1, v1, v9
	v_mul_f32_e32 v5, 0x5f7ffffc, v5
	v_mul_f32_e32 v6, 0x2f800000, v5
	v_trunc_f32_e32 v6, v6
	v_madmk_f32 v5, v6, 0xcf800000, v5
	v_cvt_u32_f32_e32 v6, v6
	v_cvt_u32_f32_e32 v5, v5
	v_addc_co_u32_e32 v7, vcc, v7, v9, vcc
	v_readfirstlane_b32 s52, v6
	v_readfirstlane_b32 s2, v5
	s_mul_i32 s3, s24, s52
	s_mul_hi_u32 s54, s24, s2
	s_mul_i32 s53, s47, s2
	s_add_i32 s3, s54, s3
	s_add_i32 s3, s3, s53
	s_mul_i32 s55, s24, s2
	s_mul_i32 s54, s2, s3
	s_mul_hi_u32 s56, s2, s55
	s_mul_hi_u32 s53, s2, s3
	s_add_u32 s54, s56, s54
	s_addc_u32 s53, 0, s53
	s_mul_hi_u32 s57, s52, s55
	s_mul_i32 s55, s52, s55
	s_add_u32 s54, s54, s55
	s_mul_hi_u32 s56, s52, s3
	s_addc_u32 s53, s53, s57
	s_addc_u32 s54, s56, 0
	s_mul_i32 s3, s52, s3
	s_add_u32 s3, s53, s3
	s_addc_u32 s53, 0, s54
	s_add_u32 s54, s2, s3
	s_cselect_b64 s[2:3], -1, 0
	s_cmp_lg_u64 s[2:3], 0
	s_addc_u32 s52, s52, s53
	s_mul_i32 s2, s24, s52
	s_mul_hi_u32 s3, s24, s54
	s_add_i32 s2, s3, s2
	s_mul_i32 s47, s47, s54
	s_add_i32 s2, s2, s47
	s_mul_i32 s24, s24, s54
	s_mul_hi_u32 s47, s52, s24
	s_mul_i32 s53, s52, s24
	s_mul_i32 s56, s54, s2
	s_mul_hi_u32 s24, s54, s24
	s_mul_hi_u32 s55, s54, s2
	s_add_u32 s24, s24, s56
	s_addc_u32 s55, 0, s55
	s_add_u32 s24, s24, s53
	s_mul_hi_u32 s3, s52, s2
	s_addc_u32 s24, s55, s47
	s_addc_u32 s3, s3, 0
	s_mul_i32 s2, s52, s2
	s_add_u32 s2, s24, s2
	s_addc_u32 s24, 0, s3
	s_add_u32 s47, s54, s2
	s_cselect_b64 s[2:3], -1, 0
	s_cmp_lg_u64 s[2:3], 0
	s_addc_u32 s24, s52, s24
	v_mad_u64_u32 v[5:6], s[2:3], v1, s24, 0
	v_mul_hi_u32 v8, v1, s47
	v_xor_b32_e32 v10, v7, v9
	v_add_co_u32_e32 v12, vcc, v8, v5
	v_addc_co_u32_e32 v13, vcc, 0, v6, vcc
	v_mad_u64_u32 v[5:6], s[2:3], v10, s47, 0
	v_mad_u64_u32 v[7:8], s[2:3], v10, s24, 0
	v_add_co_u32_e32 v5, vcc, v12, v5
	v_addc_co_u32_e32 v5, vcc, v13, v6, vcc
	v_addc_co_u32_e32 v6, vcc, 0, v8, vcc
	v_add_co_u32_e32 v7, vcc, v5, v7
	v_addc_co_u32_e32 v8, vcc, 0, v6, vcc
	v_mul_lo_u32 v12, s49, v7
	v_mul_lo_u32 v13, s48, v8
	v_mad_u64_u32 v[5:6], s[2:3], s48, v7, 0
	v_add3_u32 v6, v6, v13, v12
	v_sub_u32_e32 v12, v10, v6
	v_mov_b32_e32 v13, s49
	v_sub_co_u32_e32 v1, vcc, v1, v5
	v_subb_co_u32_e64 v5, s[2:3], v12, v13, vcc
	v_subrev_co_u32_e64 v12, s[2:3], s48, v1
	v_subbrev_co_u32_e64 v5, s[2:3], 0, v5, s[2:3]
	v_cmp_le_u32_e64 s[2:3], s49, v5
	v_cndmask_b32_e64 v13, 0, -1, s[2:3]
	v_cmp_le_u32_e64 s[2:3], s48, v12
	v_cndmask_b32_e64 v12, 0, -1, s[2:3]
	v_cmp_eq_u32_e64 s[2:3], s49, v5
	v_cndmask_b32_e64 v5, v13, v12, s[2:3]
	v_add_co_u32_e64 v12, s[2:3], 2, v7
	v_subb_co_u32_e32 v6, vcc, v10, v6, vcc
	v_addc_co_u32_e64 v13, s[2:3], 0, v8, s[2:3]
	v_cmp_le_u32_e32 vcc, s49, v6
	v_add_co_u32_e64 v14, s[2:3], 1, v7
	v_cndmask_b32_e64 v10, 0, -1, vcc
	v_cmp_le_u32_e32 vcc, s48, v1
	v_addc_co_u32_e64 v15, s[2:3], 0, v8, s[2:3]
	v_cndmask_b32_e64 v1, 0, -1, vcc
	v_cmp_eq_u32_e32 vcc, s49, v6
	v_cmp_ne_u32_e64 s[2:3], 0, v5
	v_cndmask_b32_e32 v1, v10, v1, vcc
	v_cndmask_b32_e64 v5, v15, v13, s[2:3]
	v_cmp_ne_u32_e32 vcc, 0, v1
	v_cndmask_b32_e32 v1, v8, v5, vcc
	v_cndmask_b32_e64 v5, v14, v12, s[2:3]
	v_cndmask_b32_e32 v5, v7, v5, vcc
	v_xor_b32_e32 v6, s46, v9
	v_xor_b32_e32 v5, v5, v6
	;; [unrolled: 1-line block ×3, first 2 shown]
	v_sub_co_u32_e32 v5, vcc, v5, v6
	v_subb_co_u32_e32 v6, vcc, v1, v6, vcc
                                        ; implicit-def: $vgpr1
.LBB10_17:
	s_andn2_saveexec_b64 s[2:3], s[44:45]
	s_cbranch_execz .LBB10_19
; %bb.18:
	v_cvt_f32_u32_e32 v5, s16
	s_sub_i32 s24, 0, s16
	v_rcp_iflag_f32_e32 v5, v5
	v_mul_f32_e32 v5, 0x4f7ffffe, v5
	v_cvt_u32_f32_e32 v5, v5
	v_mul_lo_u32 v6, s24, v5
	v_mul_hi_u32 v6, v5, v6
	v_add_u32_e32 v5, v5, v6
	v_mul_hi_u32 v5, v1, v5
	v_mul_lo_u32 v6, v5, s16
	v_add_u32_e32 v7, 1, v5
	v_sub_u32_e32 v1, v1, v6
	v_subrev_u32_e32 v6, s16, v1
	v_cmp_le_u32_e32 vcc, s16, v1
	v_cndmask_b32_e32 v1, v1, v6, vcc
	v_cndmask_b32_e32 v5, v5, v7, vcc
	v_add_u32_e32 v6, 1, v5
	v_cmp_le_u32_e32 vcc, s16, v1
	v_cndmask_b32_e32 v5, v5, v6, vcc
	v_mov_b32_e32 v6, 0
.LBB10_19:
	s_or_b64 exec, exec, s[2:3]
.LBB10_20:
	s_or_b64 exec, exec, s[42:43]
	v_or_b32_e32 v8, s17, v4
	v_mov_b32_e32 v7, 0
	v_cmp_ne_u64_e32 vcc, 0, v[7:8]
                                        ; implicit-def: $vgpr7_vgpr8
	s_and_saveexec_b64 s[2:3], vcc
	s_xor_b64 s[42:43], exec, s[2:3]
	s_cbranch_execz .LBB10_22
; %bb.21:
	s_ashr_i32 s44, s17, 31
	s_add_u32 s2, s16, s44
	s_mov_b32 s45, s44
	s_addc_u32 s3, s17, s44
	s_xor_b64 s[46:47], s[2:3], s[44:45]
	v_cvt_f32_u32_e32 v1, s46
	v_cvt_f32_u32_e32 v7, s47
	s_sub_u32 s24, 0, s46
	s_subb_u32 s45, 0, s47
	v_madmk_f32 v1, v7, 0x4f800000, v1
	v_rcp_f32_e32 v1, v1
	v_mul_f32_e32 v1, 0x5f7ffffc, v1
	v_mul_f32_e32 v7, 0x2f800000, v1
	v_trunc_f32_e32 v7, v7
	v_madmk_f32 v1, v7, 0xcf800000, v1
	v_cvt_u32_f32_e32 v7, v7
	v_cvt_u32_f32_e32 v1, v1
	v_readfirstlane_b32 s48, v7
	v_readfirstlane_b32 s2, v1
	s_mul_i32 s3, s24, s48
	s_mul_hi_u32 s52, s24, s2
	s_mul_i32 s49, s45, s2
	s_add_i32 s3, s52, s3
	s_add_i32 s3, s3, s49
	s_mul_i32 s53, s24, s2
	s_mul_i32 s52, s2, s3
	s_mul_hi_u32 s54, s2, s53
	s_mul_hi_u32 s49, s2, s3
	s_add_u32 s52, s54, s52
	s_addc_u32 s49, 0, s49
	s_mul_hi_u32 s55, s48, s53
	s_mul_i32 s53, s48, s53
	s_add_u32 s52, s52, s53
	s_mul_hi_u32 s54, s48, s3
	s_addc_u32 s49, s49, s55
	s_addc_u32 s52, s54, 0
	s_mul_i32 s3, s48, s3
	s_add_u32 s3, s49, s3
	s_addc_u32 s49, 0, s52
	s_add_u32 s52, s2, s3
	s_cselect_b64 s[2:3], -1, 0
	s_cmp_lg_u64 s[2:3], 0
	s_addc_u32 s48, s48, s49
	s_mul_i32 s2, s24, s48
	s_mul_hi_u32 s3, s24, s52
	s_add_i32 s2, s3, s2
	s_mul_i32 s45, s45, s52
	s_add_i32 s2, s2, s45
	s_mul_i32 s24, s24, s52
	s_mul_hi_u32 s45, s48, s24
	s_mul_i32 s49, s48, s24
	s_mul_i32 s54, s52, s2
	s_mul_hi_u32 s24, s52, s24
	s_mul_hi_u32 s53, s52, s2
	s_add_u32 s24, s24, s54
	s_addc_u32 s53, 0, s53
	s_add_u32 s24, s24, s49
	s_mul_hi_u32 s3, s48, s2
	s_addc_u32 s24, s53, s45
	s_addc_u32 s3, s3, 0
	s_mul_i32 s2, s48, s2
	s_add_u32 s2, s24, s2
	s_addc_u32 s24, 0, s3
	s_add_u32 s45, s52, s2
	s_cselect_b64 s[2:3], -1, 0
	v_ashrrev_i32_e32 v1, 31, v4
	s_cmp_lg_u64 s[2:3], 0
	v_add_co_u32_e32 v7, vcc, v3, v1
	s_addc_u32 s24, s48, s24
	v_xor_b32_e32 v12, v7, v1
	v_mad_u64_u32 v[7:8], s[2:3], v12, s24, 0
	v_mul_hi_u32 v10, v12, s45
	v_addc_co_u32_e32 v9, vcc, v4, v1, vcc
	v_xor_b32_e32 v13, v9, v1
	v_add_co_u32_e32 v14, vcc, v10, v7
	v_addc_co_u32_e32 v15, vcc, 0, v8, vcc
	v_mad_u64_u32 v[7:8], s[2:3], v13, s45, 0
	v_mad_u64_u32 v[9:10], s[2:3], v13, s24, 0
	v_add_co_u32_e32 v7, vcc, v14, v7
	v_addc_co_u32_e32 v7, vcc, v15, v8, vcc
	v_addc_co_u32_e32 v8, vcc, 0, v10, vcc
	v_add_co_u32_e32 v9, vcc, v7, v9
	v_addc_co_u32_e32 v10, vcc, 0, v8, vcc
	v_mul_lo_u32 v14, s47, v9
	v_mul_lo_u32 v15, s46, v10
	v_mad_u64_u32 v[7:8], s[2:3], s46, v9, 0
	v_xor_b32_e32 v1, s44, v1
	v_add3_u32 v8, v8, v15, v14
	v_sub_u32_e32 v14, v13, v8
	v_mov_b32_e32 v15, s47
	v_sub_co_u32_e32 v7, vcc, v12, v7
	v_subb_co_u32_e64 v12, s[2:3], v14, v15, vcc
	v_subrev_co_u32_e64 v14, s[2:3], s46, v7
	v_subbrev_co_u32_e64 v12, s[2:3], 0, v12, s[2:3]
	v_cmp_le_u32_e64 s[2:3], s47, v12
	v_cndmask_b32_e64 v15, 0, -1, s[2:3]
	v_cmp_le_u32_e64 s[2:3], s46, v14
	v_cndmask_b32_e64 v14, 0, -1, s[2:3]
	v_cmp_eq_u32_e64 s[2:3], s47, v12
	v_cndmask_b32_e64 v12, v15, v14, s[2:3]
	v_add_co_u32_e64 v14, s[2:3], 2, v9
	v_subb_co_u32_e32 v8, vcc, v13, v8, vcc
	v_addc_co_u32_e64 v15, s[2:3], 0, v10, s[2:3]
	v_cmp_le_u32_e32 vcc, s47, v8
	v_add_co_u32_e64 v16, s[2:3], 1, v9
	v_cndmask_b32_e64 v13, 0, -1, vcc
	v_cmp_le_u32_e32 vcc, s46, v7
	v_addc_co_u32_e64 v17, s[2:3], 0, v10, s[2:3]
	v_cndmask_b32_e64 v7, 0, -1, vcc
	v_cmp_eq_u32_e32 vcc, s47, v8
	v_cmp_ne_u32_e64 s[2:3], 0, v12
	v_cndmask_b32_e32 v7, v13, v7, vcc
	v_cndmask_b32_e64 v12, v17, v15, s[2:3]
	v_cmp_ne_u32_e32 vcc, 0, v7
	v_cndmask_b32_e64 v8, v16, v14, s[2:3]
	v_cndmask_b32_e32 v7, v10, v12, vcc
	v_cndmask_b32_e32 v8, v9, v8, vcc
	v_xor_b32_e32 v9, v7, v1
	v_xor_b32_e32 v7, v8, v1
	v_sub_co_u32_e32 v7, vcc, v7, v1
	v_subb_co_u32_e32 v8, vcc, v9, v1, vcc
.LBB10_22:
	s_andn2_saveexec_b64 s[2:3], s[42:43]
	s_cbranch_execz .LBB10_24
; %bb.23:
	v_cvt_f32_u32_e32 v1, s16
	s_sub_i32 s24, 0, s16
	v_rcp_iflag_f32_e32 v1, v1
	v_mul_f32_e32 v1, 0x4f7ffffe, v1
	v_cvt_u32_f32_e32 v1, v1
	v_mul_lo_u32 v7, s24, v1
	v_mul_hi_u32 v7, v1, v7
	v_add_u32_e32 v1, v1, v7
	v_mul_hi_u32 v1, v3, v1
	v_mul_lo_u32 v7, v1, s16
	v_add_u32_e32 v8, 1, v1
	v_sub_u32_e32 v7, v3, v7
	v_subrev_u32_e32 v9, s16, v7
	v_cmp_le_u32_e32 vcc, s16, v7
	v_cndmask_b32_e32 v7, v7, v9, vcc
	v_cndmask_b32_e32 v1, v1, v8, vcc
	v_add_u32_e32 v8, 1, v1
	v_cmp_le_u32_e32 vcc, s16, v7
	v_cndmask_b32_e32 v7, v1, v8, vcc
	v_mov_b32_e32 v8, 0
.LBB10_24:
	s_or_b64 exec, exec, s[2:3]
	v_mul_lo_u32 v1, v6, s16
	v_mul_lo_u32 v12, v5, s17
	v_mad_u64_u32 v[9:10], s[2:3], v5, s16, 0
	v_add3_u32 v10, v10, v12, v1
	v_cmp_gt_i64_e32 vcc, v[9:10], v[3:4]
	v_mov_b32_e32 v1, s15
	v_add_co_u32_e64 v9, s[2:3], s14, v9
	v_addc_co_u32_e64 v10, s[2:3], v10, v1, s[2:3]
	v_cmp_ge_i64_e64 s[2:3], v[3:4], v[9:10]
	s_or_b64 s[2:3], vcc, s[2:3]
	v_cndmask_b32_e64 v1, 0, 1, s[2:3]
	v_add_co_u32_e32 v9, vcc, v5, v1
	v_addc_co_u32_e32 v10, vcc, 0, v6, vcc
	v_cmp_gt_i64_e32 vcc, s[4:5], v[7:8]
	v_mov_b32_e32 v1, s5
	v_cndmask_b32_e32 v6, v1, v8, vcc
	v_mov_b32_e32 v1, s4
	v_cndmask_b32_e32 v5, v1, v7, vcc
	v_cmp_le_i64_e32 vcc, v[9:10], v[5:6]
	s_and_saveexec_b64 s[42:43], vcc
	s_cbranch_execz .LBB10_27
; %bb.25:
	global_load_ubyte v12, v2, s[8:9]
	v_mul_lo_u32 v14, s17, v9
	v_mul_lo_u32 v15, s16, v10
	v_mad_u64_u32 v[7:8], s[2:3], s16, v9, 0
	v_mov_b32_e32 v13, s9
	v_add_co_u32_e32 v1, vcc, s8, v2
	v_addc_co_u32_e32 v2, vcc, 0, v13, vcc
	v_add3_u32 v8, v8, v15, v14
	v_mul_lo_u32 v15, s21, v9
	v_mul_lo_u32 v16, s20, v10
	v_mad_u64_u32 v[13:14], s[2:3], s20, v9, 0
	v_sub_co_u32_e32 v3, vcc, v3, v7
	v_subb_co_u32_e32 v4, vcc, v4, v8, vcc
	v_add3_u32 v14, v14, v16, v15
	v_mad_u64_u32 v[7:8], s[2:3], s22, v3, v[13:14]
	v_mul_lo_u32 v13, s22, v4
	v_mul_lo_u32 v14, s23, v3
	v_add_co_u32_e32 v3, vcc, -1, v9
	v_addc_co_u32_e32 v4, vcc, -1, v10, vcc
	s_mul_i32 s2, s16, s23
	s_mul_hi_u32 s3, s16, s22
	v_add3_u32 v8, v14, v8, v13
	v_add_co_u32_e32 v0, vcc, v7, v0
	s_add_i32 s2, s3, s2
	s_mul_i32 s3, s17, s22
	v_addc_co_u32_e32 v8, vcc, 0, v8, vcc
	s_add_i32 s2, s2, s3
	s_mul_i32 s3, s16, s22
	v_mov_b32_e32 v9, s11
	v_add_co_u32_e32 v7, vcc, s10, v0
	s_sub_u32 s24, s20, s3
	v_addc_co_u32_e32 v8, vcc, v9, v8, vcc
	s_subb_u32 s46, s21, s2
	s_mov_b64 s[44:45], 0
.LBB10_26:                              ; =>This Inner Loop Header: Depth=1
	global_load_ubyte v0, v[7:8], off
	v_add_co_u32_e32 v3, vcc, 1, v3
	v_addc_co_u32_e32 v4, vcc, 0, v4, vcc
	v_cmp_ge_i64_e64 s[2:3], v[3:4], v[5:6]
	v_mov_b32_e32 v9, s46
	v_add_co_u32_e32 v7, vcc, s24, v7
	v_addc_co_u32_e32 v8, vcc, v8, v9, vcc
	s_or_b64 s[44:45], s[2:3], s[44:45]
	s_waitcnt vmcnt(0)
	v_or_b32_e32 v12, v0, v12
	global_store_byte v[1:2], v12, off
	s_andn2_b64 exec, exec, s[44:45]
	s_cbranch_execnz .LBB10_26
.LBB10_27:
	s_or_b64 exec, exec, s[42:43]
	v_add_u32_e32 v11, 0x100, v11
	s_or_b64 exec, exec, s[18:19]
	v_cmp_gt_i32_e32 vcc, s51, v11
	s_and_saveexec_b64 s[18:19], vcc
	s_cbranch_execz .LBB10_2
.LBB10_28:
	s_and_b64 vcc, exec, s[0:1]
	s_cbranch_vccnz .LBB10_35
; %bb.29:
	v_mov_b32_e32 v2, 0
	s_andn2_b64 vcc, exec, s[40:41]
	v_mov_b32_e32 v0, 0
	v_mov_b32_e32 v4, 0
	s_cbranch_vccnz .LBB10_34
; %bb.30:
	s_add_i32 s2, s31, 1
	s_and_b32 s24, s2, 30
	s_add_u32 s2, s33, 0xffffffe8
	s_addc_u32 s3, s50, -1
	v_mov_b32_e32 v4, 0
	v_mov_b32_e32 v0, 0
	;; [unrolled: 1-line block ×4, first 2 shown]
.LBB10_31:                              ; =>This Inner Loop Header: Depth=1
	s_load_dwordx4 s[44:47], s[2:3], 0x1c
	s_load_dwordx2 s[42:43], s[2:3], 0x2c
	s_load_dwordx2 s[48:49], s[2:3], 0xec
	s_load_dwordx4 s[52:55], s[2:3], 0xdc
	s_add_u32 s2, s2, 24
	s_waitcnt lgkmcnt(0)
	v_mul_hi_u32 v3, s45, v1
	s_addc_u32 s3, s3, 0
	s_add_i32 s24, s24, -2
	s_cmp_eq_u32 s24, 0
	v_add_u32_e32 v3, v1, v3
	v_lshrrev_b32_e32 v3, s46, v3
	v_mul_lo_u32 v5, v3, s44
	v_mul_hi_u32 v6, s42, v3
	v_sub_u32_e32 v5, v1, v5
	v_add_u32_e32 v1, v3, v6
	v_lshrrev_b32_e32 v1, s43, v1
	v_mul_lo_u32 v8, v1, s47
	v_mul_lo_u32 v6, v5, s52
	;; [unrolled: 1-line block ×4, first 2 shown]
	v_sub_u32_e32 v3, v3, v8
	v_mul_lo_u32 v8, v3, s55
	v_mul_lo_u32 v9, v3, s48
	;; [unrolled: 1-line block ×3, first 2 shown]
	v_add3_u32 v2, v6, v2, v8
	v_add3_u32 v0, v7, v0, v9
	;; [unrolled: 1-line block ×3, first 2 shown]
	s_cbranch_scc0 .LBB10_31
; %bb.32:
	s_bitcmp1_b32 s31, 0
	s_cselect_b64 s[42:43], -1, 0
	s_and_b64 vcc, exec, s[42:43]
	s_cbranch_vccnz .LBB10_34
; %bb.33:
	s_load_dwordx2 s[42:43], s[2:3], 0x1c
	s_load_dword s24, s[2:3], 0x24
	s_load_dwordx2 s[44:45], s[2:3], 0xdc
	s_waitcnt lgkmcnt(0)
	v_mul_hi_u32 v3, s43, v1
	v_add_u32_e32 v3, v1, v3
	v_lshrrev_b32_e32 v3, s24, v3
	v_mul_lo_u32 v3, v3, s42
	s_load_dword s24, s[2:3], 0xe4
	v_sub_u32_e32 v5, v1, v3
	v_mad_u64_u32 v[2:3], s[2:3], v5, s44, v[2:3]
	v_mad_u64_u32 v[0:1], s[2:3], v5, s45, v[0:1]
	s_waitcnt lgkmcnt(0)
	v_mad_u64_u32 v[4:5], s[2:3], v5, s24, v[4:5]
.LBB10_34:
	s_cbranch_execz .LBB10_36
	s_branch .LBB10_38
.LBB10_35:
                                        ; implicit-def: $vgpr2
                                        ; implicit-def: $vgpr0
                                        ; implicit-def: $vgpr4
.LBB10_36:
	v_mul_hi_u32 v0, s26, v11
	s_andn2_b64 vcc, exec, s[34:35]
	v_add_u32_e32 v0, v11, v0
	v_lshrrev_b32_e32 v1, s27, v0
	v_mul_lo_u32 v0, v1, s25
	v_sub_u32_e32 v3, v11, v0
	v_mul_lo_u32 v2, v3, s36
	v_mul_lo_u32 v0, v3, s37
	;; [unrolled: 1-line block ×3, first 2 shown]
	s_cbranch_vccnz .LBB10_38
; %bb.37:
	v_mul_hi_u32 v3, s29, v1
	v_add_u32_e32 v3, v1, v3
	v_lshrrev_b32_e32 v3, s30, v3
	v_mul_lo_u32 v3, v3, s28
	v_sub_u32_e32 v5, v1, v3
	v_mad_u64_u32 v[2:3], s[2:3], v5, s39, v[2:3]
	v_mad_u64_u32 v[0:1], s[2:3], v5, s6, v[0:1]
	;; [unrolled: 1-line block ×3, first 2 shown]
.LBB10_38:
	global_load_dwordx2 v[3:4], v4, s[12:13]
	v_mov_b32_e32 v5, 0
	v_mov_b32_e32 v6, 0
	s_waitcnt vmcnt(0)
	v_cmp_lt_i64_e32 vcc, s[14:15], v[3:4]
	s_and_saveexec_b64 s[42:43], vcc
	s_cbranch_execz .LBB10_44
; %bb.39:
	v_mov_b32_e32 v5, s15
	v_subrev_co_u32_e32 v1, vcc, s14, v3
	v_subb_co_u32_e32 v7, vcc, v4, v5, vcc
	v_or_b32_e32 v6, s17, v7
	v_mov_b32_e32 v5, 0
	v_cmp_ne_u64_e32 vcc, 0, v[5:6]
                                        ; implicit-def: $vgpr5_vgpr6
	s_and_saveexec_b64 s[2:3], vcc
	s_xor_b64 s[44:45], exec, s[2:3]
	s_cbranch_execz .LBB10_41
; %bb.40:
	s_ashr_i32 s46, s17, 31
	s_add_u32 s2, s16, s46
	s_mov_b32 s47, s46
	s_addc_u32 s3, s17, s46
	s_xor_b64 s[48:49], s[2:3], s[46:47]
	v_cvt_f32_u32_e32 v5, s48
	v_cvt_f32_u32_e32 v6, s49
	s_sub_u32 s24, 0, s48
	s_subb_u32 s47, 0, s49
	v_ashrrev_i32_e32 v9, 31, v7
	v_madmk_f32 v5, v6, 0x4f800000, v5
	v_rcp_f32_e32 v5, v5
	v_add_co_u32_e32 v1, vcc, v1, v9
	v_xor_b32_e32 v1, v1, v9
	v_mul_f32_e32 v5, 0x5f7ffffc, v5
	v_mul_f32_e32 v6, 0x2f800000, v5
	v_trunc_f32_e32 v6, v6
	v_madmk_f32 v5, v6, 0xcf800000, v5
	v_cvt_u32_f32_e32 v6, v6
	v_cvt_u32_f32_e32 v5, v5
	v_addc_co_u32_e32 v7, vcc, v7, v9, vcc
	v_readfirstlane_b32 s52, v6
	v_readfirstlane_b32 s2, v5
	s_mul_i32 s3, s24, s52
	s_mul_hi_u32 s54, s24, s2
	s_mul_i32 s53, s47, s2
	s_add_i32 s3, s54, s3
	s_add_i32 s3, s3, s53
	s_mul_i32 s55, s24, s2
	s_mul_i32 s54, s2, s3
	s_mul_hi_u32 s56, s2, s55
	s_mul_hi_u32 s53, s2, s3
	s_add_u32 s54, s56, s54
	s_addc_u32 s53, 0, s53
	s_mul_hi_u32 s57, s52, s55
	s_mul_i32 s55, s52, s55
	s_add_u32 s54, s54, s55
	s_mul_hi_u32 s56, s52, s3
	s_addc_u32 s53, s53, s57
	s_addc_u32 s54, s56, 0
	s_mul_i32 s3, s52, s3
	s_add_u32 s3, s53, s3
	s_addc_u32 s53, 0, s54
	s_add_u32 s54, s2, s3
	s_cselect_b64 s[2:3], -1, 0
	s_cmp_lg_u64 s[2:3], 0
	s_addc_u32 s52, s52, s53
	s_mul_i32 s2, s24, s52
	s_mul_hi_u32 s3, s24, s54
	s_add_i32 s2, s3, s2
	s_mul_i32 s47, s47, s54
	s_add_i32 s2, s2, s47
	s_mul_i32 s24, s24, s54
	s_mul_hi_u32 s47, s52, s24
	s_mul_i32 s53, s52, s24
	s_mul_i32 s56, s54, s2
	s_mul_hi_u32 s24, s54, s24
	s_mul_hi_u32 s55, s54, s2
	s_add_u32 s24, s24, s56
	s_addc_u32 s55, 0, s55
	s_add_u32 s24, s24, s53
	s_mul_hi_u32 s3, s52, s2
	s_addc_u32 s24, s55, s47
	s_addc_u32 s3, s3, 0
	s_mul_i32 s2, s52, s2
	s_add_u32 s2, s24, s2
	s_addc_u32 s24, 0, s3
	s_add_u32 s47, s54, s2
	s_cselect_b64 s[2:3], -1, 0
	s_cmp_lg_u64 s[2:3], 0
	s_addc_u32 s24, s52, s24
	v_mad_u64_u32 v[5:6], s[2:3], v1, s24, 0
	v_mul_hi_u32 v8, v1, s47
	v_xor_b32_e32 v10, v7, v9
	v_add_co_u32_e32 v12, vcc, v8, v5
	v_addc_co_u32_e32 v13, vcc, 0, v6, vcc
	v_mad_u64_u32 v[5:6], s[2:3], v10, s47, 0
	v_mad_u64_u32 v[7:8], s[2:3], v10, s24, 0
	v_add_co_u32_e32 v5, vcc, v12, v5
	v_addc_co_u32_e32 v5, vcc, v13, v6, vcc
	v_addc_co_u32_e32 v6, vcc, 0, v8, vcc
	v_add_co_u32_e32 v7, vcc, v5, v7
	v_addc_co_u32_e32 v8, vcc, 0, v6, vcc
	v_mul_lo_u32 v12, s49, v7
	v_mul_lo_u32 v13, s48, v8
	v_mad_u64_u32 v[5:6], s[2:3], s48, v7, 0
	v_add3_u32 v6, v6, v13, v12
	v_sub_u32_e32 v12, v10, v6
	v_mov_b32_e32 v13, s49
	v_sub_co_u32_e32 v1, vcc, v1, v5
	v_subb_co_u32_e64 v5, s[2:3], v12, v13, vcc
	v_subrev_co_u32_e64 v12, s[2:3], s48, v1
	v_subbrev_co_u32_e64 v5, s[2:3], 0, v5, s[2:3]
	v_cmp_le_u32_e64 s[2:3], s49, v5
	v_cndmask_b32_e64 v13, 0, -1, s[2:3]
	v_cmp_le_u32_e64 s[2:3], s48, v12
	v_cndmask_b32_e64 v12, 0, -1, s[2:3]
	v_cmp_eq_u32_e64 s[2:3], s49, v5
	v_cndmask_b32_e64 v5, v13, v12, s[2:3]
	v_add_co_u32_e64 v12, s[2:3], 2, v7
	v_subb_co_u32_e32 v6, vcc, v10, v6, vcc
	v_addc_co_u32_e64 v13, s[2:3], 0, v8, s[2:3]
	v_cmp_le_u32_e32 vcc, s49, v6
	v_add_co_u32_e64 v14, s[2:3], 1, v7
	v_cndmask_b32_e64 v10, 0, -1, vcc
	v_cmp_le_u32_e32 vcc, s48, v1
	v_addc_co_u32_e64 v15, s[2:3], 0, v8, s[2:3]
	v_cndmask_b32_e64 v1, 0, -1, vcc
	v_cmp_eq_u32_e32 vcc, s49, v6
	v_cmp_ne_u32_e64 s[2:3], 0, v5
	v_cndmask_b32_e32 v1, v10, v1, vcc
	v_cndmask_b32_e64 v5, v15, v13, s[2:3]
	v_cmp_ne_u32_e32 vcc, 0, v1
	v_cndmask_b32_e32 v1, v8, v5, vcc
	v_cndmask_b32_e64 v5, v14, v12, s[2:3]
	v_cndmask_b32_e32 v5, v7, v5, vcc
	v_xor_b32_e32 v6, s46, v9
	v_xor_b32_e32 v5, v5, v6
	;; [unrolled: 1-line block ×3, first 2 shown]
	v_sub_co_u32_e32 v5, vcc, v5, v6
	v_subb_co_u32_e32 v6, vcc, v1, v6, vcc
                                        ; implicit-def: $vgpr1
.LBB10_41:
	s_andn2_saveexec_b64 s[2:3], s[44:45]
	s_cbranch_execz .LBB10_43
; %bb.42:
	v_cvt_f32_u32_e32 v5, s16
	s_sub_i32 s24, 0, s16
	v_rcp_iflag_f32_e32 v5, v5
	v_mul_f32_e32 v5, 0x4f7ffffe, v5
	v_cvt_u32_f32_e32 v5, v5
	v_mul_lo_u32 v6, s24, v5
	v_mul_hi_u32 v6, v5, v6
	v_add_u32_e32 v5, v5, v6
	v_mul_hi_u32 v5, v1, v5
	v_mul_lo_u32 v6, v5, s16
	v_add_u32_e32 v7, 1, v5
	v_sub_u32_e32 v1, v1, v6
	v_subrev_u32_e32 v6, s16, v1
	v_cmp_le_u32_e32 vcc, s16, v1
	v_cndmask_b32_e32 v1, v1, v6, vcc
	v_cndmask_b32_e32 v5, v5, v7, vcc
	v_add_u32_e32 v6, 1, v5
	v_cmp_le_u32_e32 vcc, s16, v1
	v_cndmask_b32_e32 v5, v5, v6, vcc
	v_mov_b32_e32 v6, 0
.LBB10_43:
	s_or_b64 exec, exec, s[2:3]
.LBB10_44:
	s_or_b64 exec, exec, s[42:43]
	v_or_b32_e32 v8, s17, v4
	v_mov_b32_e32 v7, 0
	v_cmp_ne_u64_e32 vcc, 0, v[7:8]
                                        ; implicit-def: $vgpr7_vgpr8
	s_and_saveexec_b64 s[2:3], vcc
	s_xor_b64 s[42:43], exec, s[2:3]
	s_cbranch_execz .LBB10_46
; %bb.45:
	s_ashr_i32 s44, s17, 31
	s_add_u32 s2, s16, s44
	s_mov_b32 s45, s44
	s_addc_u32 s3, s17, s44
	s_xor_b64 s[46:47], s[2:3], s[44:45]
	v_cvt_f32_u32_e32 v1, s46
	v_cvt_f32_u32_e32 v7, s47
	s_sub_u32 s24, 0, s46
	s_subb_u32 s45, 0, s47
	v_madmk_f32 v1, v7, 0x4f800000, v1
	v_rcp_f32_e32 v1, v1
	v_mul_f32_e32 v1, 0x5f7ffffc, v1
	v_mul_f32_e32 v7, 0x2f800000, v1
	v_trunc_f32_e32 v7, v7
	v_madmk_f32 v1, v7, 0xcf800000, v1
	v_cvt_u32_f32_e32 v7, v7
	v_cvt_u32_f32_e32 v1, v1
	v_readfirstlane_b32 s48, v7
	v_readfirstlane_b32 s2, v1
	s_mul_i32 s3, s24, s48
	s_mul_hi_u32 s52, s24, s2
	s_mul_i32 s49, s45, s2
	s_add_i32 s3, s52, s3
	s_add_i32 s3, s3, s49
	s_mul_i32 s53, s24, s2
	s_mul_i32 s52, s2, s3
	s_mul_hi_u32 s54, s2, s53
	s_mul_hi_u32 s49, s2, s3
	s_add_u32 s52, s54, s52
	s_addc_u32 s49, 0, s49
	s_mul_hi_u32 s55, s48, s53
	s_mul_i32 s53, s48, s53
	s_add_u32 s52, s52, s53
	s_mul_hi_u32 s54, s48, s3
	s_addc_u32 s49, s49, s55
	s_addc_u32 s52, s54, 0
	s_mul_i32 s3, s48, s3
	s_add_u32 s3, s49, s3
	s_addc_u32 s49, 0, s52
	s_add_u32 s52, s2, s3
	s_cselect_b64 s[2:3], -1, 0
	s_cmp_lg_u64 s[2:3], 0
	s_addc_u32 s48, s48, s49
	s_mul_i32 s2, s24, s48
	s_mul_hi_u32 s3, s24, s52
	s_add_i32 s2, s3, s2
	s_mul_i32 s45, s45, s52
	s_add_i32 s2, s2, s45
	s_mul_i32 s24, s24, s52
	s_mul_hi_u32 s45, s48, s24
	s_mul_i32 s49, s48, s24
	s_mul_i32 s54, s52, s2
	s_mul_hi_u32 s24, s52, s24
	s_mul_hi_u32 s53, s52, s2
	s_add_u32 s24, s24, s54
	s_addc_u32 s53, 0, s53
	s_add_u32 s24, s24, s49
	s_mul_hi_u32 s3, s48, s2
	s_addc_u32 s24, s53, s45
	s_addc_u32 s3, s3, 0
	s_mul_i32 s2, s48, s2
	s_add_u32 s2, s24, s2
	s_addc_u32 s24, 0, s3
	s_add_u32 s45, s52, s2
	s_cselect_b64 s[2:3], -1, 0
	v_ashrrev_i32_e32 v1, 31, v4
	s_cmp_lg_u64 s[2:3], 0
	v_add_co_u32_e32 v7, vcc, v3, v1
	s_addc_u32 s24, s48, s24
	v_xor_b32_e32 v12, v7, v1
	v_mad_u64_u32 v[7:8], s[2:3], v12, s24, 0
	v_mul_hi_u32 v10, v12, s45
	v_addc_co_u32_e32 v9, vcc, v4, v1, vcc
	v_xor_b32_e32 v13, v9, v1
	v_add_co_u32_e32 v14, vcc, v10, v7
	v_addc_co_u32_e32 v15, vcc, 0, v8, vcc
	v_mad_u64_u32 v[7:8], s[2:3], v13, s45, 0
	v_mad_u64_u32 v[9:10], s[2:3], v13, s24, 0
	v_add_co_u32_e32 v7, vcc, v14, v7
	v_addc_co_u32_e32 v7, vcc, v15, v8, vcc
	v_addc_co_u32_e32 v8, vcc, 0, v10, vcc
	v_add_co_u32_e32 v9, vcc, v7, v9
	v_addc_co_u32_e32 v10, vcc, 0, v8, vcc
	v_mul_lo_u32 v14, s47, v9
	v_mul_lo_u32 v15, s46, v10
	v_mad_u64_u32 v[7:8], s[2:3], s46, v9, 0
	v_xor_b32_e32 v1, s44, v1
	v_add3_u32 v8, v8, v15, v14
	v_sub_u32_e32 v14, v13, v8
	v_mov_b32_e32 v15, s47
	v_sub_co_u32_e32 v7, vcc, v12, v7
	v_subb_co_u32_e64 v12, s[2:3], v14, v15, vcc
	v_subrev_co_u32_e64 v14, s[2:3], s46, v7
	v_subbrev_co_u32_e64 v12, s[2:3], 0, v12, s[2:3]
	v_cmp_le_u32_e64 s[2:3], s47, v12
	v_cndmask_b32_e64 v15, 0, -1, s[2:3]
	v_cmp_le_u32_e64 s[2:3], s46, v14
	v_cndmask_b32_e64 v14, 0, -1, s[2:3]
	v_cmp_eq_u32_e64 s[2:3], s47, v12
	v_cndmask_b32_e64 v12, v15, v14, s[2:3]
	v_add_co_u32_e64 v14, s[2:3], 2, v9
	v_subb_co_u32_e32 v8, vcc, v13, v8, vcc
	v_addc_co_u32_e64 v15, s[2:3], 0, v10, s[2:3]
	v_cmp_le_u32_e32 vcc, s47, v8
	v_add_co_u32_e64 v16, s[2:3], 1, v9
	v_cndmask_b32_e64 v13, 0, -1, vcc
	v_cmp_le_u32_e32 vcc, s46, v7
	v_addc_co_u32_e64 v17, s[2:3], 0, v10, s[2:3]
	v_cndmask_b32_e64 v7, 0, -1, vcc
	v_cmp_eq_u32_e32 vcc, s47, v8
	v_cmp_ne_u32_e64 s[2:3], 0, v12
	v_cndmask_b32_e32 v7, v13, v7, vcc
	v_cndmask_b32_e64 v12, v17, v15, s[2:3]
	v_cmp_ne_u32_e32 vcc, 0, v7
	v_cndmask_b32_e64 v8, v16, v14, s[2:3]
	v_cndmask_b32_e32 v7, v10, v12, vcc
	v_cndmask_b32_e32 v8, v9, v8, vcc
	v_xor_b32_e32 v9, v7, v1
	v_xor_b32_e32 v7, v8, v1
	v_sub_co_u32_e32 v7, vcc, v7, v1
	v_subb_co_u32_e32 v8, vcc, v9, v1, vcc
.LBB10_46:
	s_andn2_saveexec_b64 s[2:3], s[42:43]
	s_cbranch_execz .LBB10_48
; %bb.47:
	v_cvt_f32_u32_e32 v1, s16
	s_sub_i32 s24, 0, s16
	v_rcp_iflag_f32_e32 v1, v1
	v_mul_f32_e32 v1, 0x4f7ffffe, v1
	v_cvt_u32_f32_e32 v1, v1
	v_mul_lo_u32 v7, s24, v1
	v_mul_hi_u32 v7, v1, v7
	v_add_u32_e32 v1, v1, v7
	v_mul_hi_u32 v1, v3, v1
	v_mul_lo_u32 v7, v1, s16
	v_add_u32_e32 v8, 1, v1
	v_sub_u32_e32 v7, v3, v7
	v_subrev_u32_e32 v9, s16, v7
	v_cmp_le_u32_e32 vcc, s16, v7
	v_cndmask_b32_e32 v7, v7, v9, vcc
	v_cndmask_b32_e32 v1, v1, v8, vcc
	v_add_u32_e32 v8, 1, v1
	v_cmp_le_u32_e32 vcc, s16, v7
	v_cndmask_b32_e32 v7, v1, v8, vcc
	v_mov_b32_e32 v8, 0
.LBB10_48:
	s_or_b64 exec, exec, s[2:3]
	v_mul_lo_u32 v1, v6, s16
	v_mul_lo_u32 v12, v5, s17
	v_mad_u64_u32 v[9:10], s[2:3], v5, s16, 0
	v_add3_u32 v10, v10, v12, v1
	v_cmp_gt_i64_e32 vcc, v[9:10], v[3:4]
	v_mov_b32_e32 v1, s15
	v_add_co_u32_e64 v9, s[2:3], s14, v9
	v_addc_co_u32_e64 v10, s[2:3], v10, v1, s[2:3]
	v_cmp_ge_i64_e64 s[2:3], v[3:4], v[9:10]
	s_or_b64 s[2:3], vcc, s[2:3]
	v_cndmask_b32_e64 v1, 0, 1, s[2:3]
	v_add_co_u32_e32 v9, vcc, v5, v1
	v_addc_co_u32_e32 v10, vcc, 0, v6, vcc
	v_cmp_gt_i64_e32 vcc, s[4:5], v[7:8]
	v_mov_b32_e32 v1, s5
	v_cndmask_b32_e32 v6, v1, v8, vcc
	v_mov_b32_e32 v1, s4
	v_cndmask_b32_e32 v5, v1, v7, vcc
	v_cmp_le_i64_e32 vcc, v[9:10], v[5:6]
	s_and_saveexec_b64 s[42:43], vcc
	s_cbranch_execz .LBB10_51
; %bb.49:
	global_load_ubyte v12, v2, s[8:9]
	v_mul_lo_u32 v14, s17, v9
	v_mul_lo_u32 v15, s16, v10
	v_mad_u64_u32 v[7:8], s[2:3], s16, v9, 0
	v_mov_b32_e32 v13, s9
	v_add_co_u32_e32 v1, vcc, s8, v2
	v_addc_co_u32_e32 v2, vcc, 0, v13, vcc
	v_add3_u32 v8, v8, v15, v14
	v_mul_lo_u32 v15, s21, v9
	v_mul_lo_u32 v16, s20, v10
	v_mad_u64_u32 v[13:14], s[2:3], s20, v9, 0
	v_sub_co_u32_e32 v3, vcc, v3, v7
	v_subb_co_u32_e32 v4, vcc, v4, v8, vcc
	v_add3_u32 v14, v14, v16, v15
	v_mad_u64_u32 v[7:8], s[2:3], s22, v3, v[13:14]
	v_mul_lo_u32 v13, s22, v4
	v_mul_lo_u32 v14, s23, v3
	v_add_co_u32_e32 v3, vcc, -1, v9
	v_addc_co_u32_e32 v4, vcc, -1, v10, vcc
	s_mul_i32 s2, s16, s23
	s_mul_hi_u32 s3, s16, s22
	v_add3_u32 v8, v14, v8, v13
	v_add_co_u32_e32 v0, vcc, v7, v0
	s_add_i32 s2, s3, s2
	s_mul_i32 s3, s17, s22
	v_addc_co_u32_e32 v8, vcc, 0, v8, vcc
	s_add_i32 s2, s2, s3
	s_mul_i32 s3, s16, s22
	v_mov_b32_e32 v9, s11
	v_add_co_u32_e32 v7, vcc, s10, v0
	s_sub_u32 s24, s20, s3
	v_addc_co_u32_e32 v8, vcc, v9, v8, vcc
	s_subb_u32 s46, s21, s2
	s_mov_b64 s[44:45], 0
.LBB10_50:                              ; =>This Inner Loop Header: Depth=1
	global_load_ubyte v0, v[7:8], off
	v_add_co_u32_e32 v3, vcc, 1, v3
	v_addc_co_u32_e32 v4, vcc, 0, v4, vcc
	v_cmp_ge_i64_e64 s[2:3], v[3:4], v[5:6]
	v_mov_b32_e32 v9, s46
	v_add_co_u32_e32 v7, vcc, s24, v7
	v_addc_co_u32_e32 v8, vcc, v8, v9, vcc
	s_or_b64 s[44:45], s[2:3], s[44:45]
	s_waitcnt vmcnt(0)
	v_or_b32_e32 v12, v0, v12
	global_store_byte v[1:2], v12, off
	s_andn2_b64 exec, exec, s[44:45]
	s_cbranch_execnz .LBB10_50
.LBB10_51:
	s_or_b64 exec, exec, s[42:43]
	v_add_u32_e32 v11, 0x100, v11
	s_or_b64 exec, exec, s[18:19]
	v_cmp_gt_i32_e32 vcc, s51, v11
	s_and_saveexec_b64 s[18:19], vcc
	s_cbranch_execz .LBB10_3
.LBB10_52:
	s_and_b64 vcc, exec, s[0:1]
	s_cbranch_vccnz .LBB10_59
; %bb.53:
	v_mov_b32_e32 v2, 0
	s_andn2_b64 vcc, exec, s[40:41]
	v_mov_b32_e32 v0, 0
	v_mov_b32_e32 v4, 0
	s_cbranch_vccnz .LBB10_58
; %bb.54:
	s_add_i32 s2, s31, 1
	s_and_b32 s24, s2, 30
	s_add_u32 s2, s33, 0xffffffe8
	s_addc_u32 s3, s50, -1
	v_mov_b32_e32 v4, 0
	v_mov_b32_e32 v0, 0
	v_mov_b32_e32 v2, 0
	v_mov_b32_e32 v1, v11
.LBB10_55:                              ; =>This Inner Loop Header: Depth=1
	s_load_dwordx4 s[44:47], s[2:3], 0x1c
	s_load_dwordx2 s[42:43], s[2:3], 0x2c
	s_load_dwordx2 s[48:49], s[2:3], 0xec
	s_load_dwordx4 s[52:55], s[2:3], 0xdc
	s_add_u32 s2, s2, 24
	s_waitcnt lgkmcnt(0)
	v_mul_hi_u32 v3, s45, v1
	s_addc_u32 s3, s3, 0
	s_add_i32 s24, s24, -2
	s_cmp_eq_u32 s24, 0
	v_add_u32_e32 v3, v1, v3
	v_lshrrev_b32_e32 v3, s46, v3
	v_mul_lo_u32 v5, v3, s44
	v_mul_hi_u32 v6, s42, v3
	v_sub_u32_e32 v5, v1, v5
	v_add_u32_e32 v1, v3, v6
	v_lshrrev_b32_e32 v1, s43, v1
	v_mul_lo_u32 v8, v1, s47
	v_mul_lo_u32 v6, v5, s52
	;; [unrolled: 1-line block ×4, first 2 shown]
	v_sub_u32_e32 v3, v3, v8
	v_mul_lo_u32 v8, v3, s55
	v_mul_lo_u32 v9, v3, s48
	;; [unrolled: 1-line block ×3, first 2 shown]
	v_add3_u32 v2, v6, v2, v8
	v_add3_u32 v0, v7, v0, v9
	;; [unrolled: 1-line block ×3, first 2 shown]
	s_cbranch_scc0 .LBB10_55
; %bb.56:
	s_bitcmp1_b32 s31, 0
	s_cselect_b64 s[42:43], -1, 0
	s_and_b64 vcc, exec, s[42:43]
	s_cbranch_vccnz .LBB10_58
; %bb.57:
	s_load_dwordx2 s[42:43], s[2:3], 0x1c
	s_load_dword s24, s[2:3], 0x24
	s_load_dwordx2 s[44:45], s[2:3], 0xdc
	s_waitcnt lgkmcnt(0)
	v_mul_hi_u32 v3, s43, v1
	v_add_u32_e32 v3, v1, v3
	v_lshrrev_b32_e32 v3, s24, v3
	v_mul_lo_u32 v3, v3, s42
	s_load_dword s24, s[2:3], 0xe4
	v_sub_u32_e32 v5, v1, v3
	v_mad_u64_u32 v[2:3], s[2:3], v5, s44, v[2:3]
	v_mad_u64_u32 v[0:1], s[2:3], v5, s45, v[0:1]
	s_waitcnt lgkmcnt(0)
	v_mad_u64_u32 v[4:5], s[2:3], v5, s24, v[4:5]
.LBB10_58:
	s_cbranch_execz .LBB10_60
	s_branch .LBB10_62
.LBB10_59:
                                        ; implicit-def: $vgpr2
                                        ; implicit-def: $vgpr0
                                        ; implicit-def: $vgpr4
.LBB10_60:
	v_mul_hi_u32 v0, s26, v11
	s_andn2_b64 vcc, exec, s[34:35]
	v_add_u32_e32 v0, v11, v0
	v_lshrrev_b32_e32 v1, s27, v0
	v_mul_lo_u32 v0, v1, s25
	v_sub_u32_e32 v3, v11, v0
	v_mul_lo_u32 v2, v3, s36
	v_mul_lo_u32 v0, v3, s37
	;; [unrolled: 1-line block ×3, first 2 shown]
	s_cbranch_vccnz .LBB10_62
; %bb.61:
	v_mul_hi_u32 v3, s29, v1
	v_add_u32_e32 v3, v1, v3
	v_lshrrev_b32_e32 v3, s30, v3
	v_mul_lo_u32 v3, v3, s28
	v_sub_u32_e32 v5, v1, v3
	v_mad_u64_u32 v[2:3], s[2:3], v5, s39, v[2:3]
	v_mad_u64_u32 v[0:1], s[2:3], v5, s6, v[0:1]
	;; [unrolled: 1-line block ×3, first 2 shown]
.LBB10_62:
	global_load_dwordx2 v[3:4], v4, s[12:13]
	v_mov_b32_e32 v5, 0
	v_mov_b32_e32 v6, 0
	s_waitcnt vmcnt(0)
	v_cmp_lt_i64_e32 vcc, s[14:15], v[3:4]
	s_and_saveexec_b64 s[42:43], vcc
	s_cbranch_execz .LBB10_68
; %bb.63:
	v_mov_b32_e32 v5, s15
	v_subrev_co_u32_e32 v1, vcc, s14, v3
	v_subb_co_u32_e32 v7, vcc, v4, v5, vcc
	v_or_b32_e32 v6, s17, v7
	v_mov_b32_e32 v5, 0
	v_cmp_ne_u64_e32 vcc, 0, v[5:6]
                                        ; implicit-def: $vgpr5_vgpr6
	s_and_saveexec_b64 s[2:3], vcc
	s_xor_b64 s[44:45], exec, s[2:3]
	s_cbranch_execz .LBB10_65
; %bb.64:
	s_ashr_i32 s46, s17, 31
	s_add_u32 s2, s16, s46
	s_mov_b32 s47, s46
	s_addc_u32 s3, s17, s46
	s_xor_b64 s[48:49], s[2:3], s[46:47]
	v_cvt_f32_u32_e32 v5, s48
	v_cvt_f32_u32_e32 v6, s49
	s_sub_u32 s24, 0, s48
	s_subb_u32 s47, 0, s49
	v_ashrrev_i32_e32 v9, 31, v7
	v_madmk_f32 v5, v6, 0x4f800000, v5
	v_rcp_f32_e32 v5, v5
	v_add_co_u32_e32 v1, vcc, v1, v9
	v_xor_b32_e32 v1, v1, v9
	v_mul_f32_e32 v5, 0x5f7ffffc, v5
	v_mul_f32_e32 v6, 0x2f800000, v5
	v_trunc_f32_e32 v6, v6
	v_madmk_f32 v5, v6, 0xcf800000, v5
	v_cvt_u32_f32_e32 v6, v6
	v_cvt_u32_f32_e32 v5, v5
	v_addc_co_u32_e32 v7, vcc, v7, v9, vcc
	v_readfirstlane_b32 s52, v6
	v_readfirstlane_b32 s2, v5
	s_mul_i32 s3, s24, s52
	s_mul_hi_u32 s54, s24, s2
	s_mul_i32 s53, s47, s2
	s_add_i32 s3, s54, s3
	s_add_i32 s3, s3, s53
	s_mul_i32 s55, s24, s2
	s_mul_i32 s54, s2, s3
	s_mul_hi_u32 s56, s2, s55
	s_mul_hi_u32 s53, s2, s3
	s_add_u32 s54, s56, s54
	s_addc_u32 s53, 0, s53
	s_mul_hi_u32 s57, s52, s55
	s_mul_i32 s55, s52, s55
	s_add_u32 s54, s54, s55
	s_mul_hi_u32 s56, s52, s3
	s_addc_u32 s53, s53, s57
	s_addc_u32 s54, s56, 0
	s_mul_i32 s3, s52, s3
	s_add_u32 s3, s53, s3
	s_addc_u32 s53, 0, s54
	s_add_u32 s54, s2, s3
	s_cselect_b64 s[2:3], -1, 0
	s_cmp_lg_u64 s[2:3], 0
	s_addc_u32 s52, s52, s53
	s_mul_i32 s2, s24, s52
	s_mul_hi_u32 s3, s24, s54
	s_add_i32 s2, s3, s2
	s_mul_i32 s47, s47, s54
	s_add_i32 s2, s2, s47
	s_mul_i32 s24, s24, s54
	s_mul_hi_u32 s47, s52, s24
	s_mul_i32 s53, s52, s24
	s_mul_i32 s56, s54, s2
	s_mul_hi_u32 s24, s54, s24
	s_mul_hi_u32 s55, s54, s2
	s_add_u32 s24, s24, s56
	s_addc_u32 s55, 0, s55
	s_add_u32 s24, s24, s53
	s_mul_hi_u32 s3, s52, s2
	s_addc_u32 s24, s55, s47
	s_addc_u32 s3, s3, 0
	s_mul_i32 s2, s52, s2
	s_add_u32 s2, s24, s2
	s_addc_u32 s24, 0, s3
	s_add_u32 s47, s54, s2
	s_cselect_b64 s[2:3], -1, 0
	s_cmp_lg_u64 s[2:3], 0
	s_addc_u32 s24, s52, s24
	v_mad_u64_u32 v[5:6], s[2:3], v1, s24, 0
	v_mul_hi_u32 v8, v1, s47
	v_xor_b32_e32 v10, v7, v9
	v_add_co_u32_e32 v12, vcc, v8, v5
	v_addc_co_u32_e32 v13, vcc, 0, v6, vcc
	v_mad_u64_u32 v[5:6], s[2:3], v10, s47, 0
	v_mad_u64_u32 v[7:8], s[2:3], v10, s24, 0
	v_add_co_u32_e32 v5, vcc, v12, v5
	v_addc_co_u32_e32 v5, vcc, v13, v6, vcc
	v_addc_co_u32_e32 v6, vcc, 0, v8, vcc
	v_add_co_u32_e32 v7, vcc, v5, v7
	v_addc_co_u32_e32 v8, vcc, 0, v6, vcc
	v_mul_lo_u32 v12, s49, v7
	v_mul_lo_u32 v13, s48, v8
	v_mad_u64_u32 v[5:6], s[2:3], s48, v7, 0
	v_add3_u32 v6, v6, v13, v12
	v_sub_u32_e32 v12, v10, v6
	v_mov_b32_e32 v13, s49
	v_sub_co_u32_e32 v1, vcc, v1, v5
	v_subb_co_u32_e64 v5, s[2:3], v12, v13, vcc
	v_subrev_co_u32_e64 v12, s[2:3], s48, v1
	v_subbrev_co_u32_e64 v5, s[2:3], 0, v5, s[2:3]
	v_cmp_le_u32_e64 s[2:3], s49, v5
	v_cndmask_b32_e64 v13, 0, -1, s[2:3]
	v_cmp_le_u32_e64 s[2:3], s48, v12
	v_cndmask_b32_e64 v12, 0, -1, s[2:3]
	v_cmp_eq_u32_e64 s[2:3], s49, v5
	v_cndmask_b32_e64 v5, v13, v12, s[2:3]
	v_add_co_u32_e64 v12, s[2:3], 2, v7
	v_subb_co_u32_e32 v6, vcc, v10, v6, vcc
	v_addc_co_u32_e64 v13, s[2:3], 0, v8, s[2:3]
	v_cmp_le_u32_e32 vcc, s49, v6
	v_add_co_u32_e64 v14, s[2:3], 1, v7
	v_cndmask_b32_e64 v10, 0, -1, vcc
	v_cmp_le_u32_e32 vcc, s48, v1
	v_addc_co_u32_e64 v15, s[2:3], 0, v8, s[2:3]
	v_cndmask_b32_e64 v1, 0, -1, vcc
	v_cmp_eq_u32_e32 vcc, s49, v6
	v_cmp_ne_u32_e64 s[2:3], 0, v5
	v_cndmask_b32_e32 v1, v10, v1, vcc
	v_cndmask_b32_e64 v5, v15, v13, s[2:3]
	v_cmp_ne_u32_e32 vcc, 0, v1
	v_cndmask_b32_e32 v1, v8, v5, vcc
	v_cndmask_b32_e64 v5, v14, v12, s[2:3]
	v_cndmask_b32_e32 v5, v7, v5, vcc
	v_xor_b32_e32 v6, s46, v9
	v_xor_b32_e32 v5, v5, v6
	;; [unrolled: 1-line block ×3, first 2 shown]
	v_sub_co_u32_e32 v5, vcc, v5, v6
	v_subb_co_u32_e32 v6, vcc, v1, v6, vcc
                                        ; implicit-def: $vgpr1
.LBB10_65:
	s_andn2_saveexec_b64 s[2:3], s[44:45]
	s_cbranch_execz .LBB10_67
; %bb.66:
	v_cvt_f32_u32_e32 v5, s16
	s_sub_i32 s24, 0, s16
	v_rcp_iflag_f32_e32 v5, v5
	v_mul_f32_e32 v5, 0x4f7ffffe, v5
	v_cvt_u32_f32_e32 v5, v5
	v_mul_lo_u32 v6, s24, v5
	v_mul_hi_u32 v6, v5, v6
	v_add_u32_e32 v5, v5, v6
	v_mul_hi_u32 v5, v1, v5
	v_mul_lo_u32 v6, v5, s16
	v_add_u32_e32 v7, 1, v5
	v_sub_u32_e32 v1, v1, v6
	v_subrev_u32_e32 v6, s16, v1
	v_cmp_le_u32_e32 vcc, s16, v1
	v_cndmask_b32_e32 v1, v1, v6, vcc
	v_cndmask_b32_e32 v5, v5, v7, vcc
	v_add_u32_e32 v6, 1, v5
	v_cmp_le_u32_e32 vcc, s16, v1
	v_cndmask_b32_e32 v5, v5, v6, vcc
	v_mov_b32_e32 v6, 0
.LBB10_67:
	s_or_b64 exec, exec, s[2:3]
.LBB10_68:
	s_or_b64 exec, exec, s[42:43]
	v_or_b32_e32 v8, s17, v4
	v_mov_b32_e32 v7, 0
	v_cmp_ne_u64_e32 vcc, 0, v[7:8]
                                        ; implicit-def: $vgpr7_vgpr8
	s_and_saveexec_b64 s[2:3], vcc
	s_xor_b64 s[42:43], exec, s[2:3]
	s_cbranch_execz .LBB10_70
; %bb.69:
	s_ashr_i32 s44, s17, 31
	s_add_u32 s2, s16, s44
	s_mov_b32 s45, s44
	s_addc_u32 s3, s17, s44
	s_xor_b64 s[46:47], s[2:3], s[44:45]
	v_cvt_f32_u32_e32 v1, s46
	v_cvt_f32_u32_e32 v7, s47
	s_sub_u32 s24, 0, s46
	s_subb_u32 s45, 0, s47
	v_madmk_f32 v1, v7, 0x4f800000, v1
	v_rcp_f32_e32 v1, v1
	v_mul_f32_e32 v1, 0x5f7ffffc, v1
	v_mul_f32_e32 v7, 0x2f800000, v1
	v_trunc_f32_e32 v7, v7
	v_madmk_f32 v1, v7, 0xcf800000, v1
	v_cvt_u32_f32_e32 v7, v7
	v_cvt_u32_f32_e32 v1, v1
	v_readfirstlane_b32 s48, v7
	v_readfirstlane_b32 s2, v1
	s_mul_i32 s3, s24, s48
	s_mul_hi_u32 s52, s24, s2
	s_mul_i32 s49, s45, s2
	s_add_i32 s3, s52, s3
	s_add_i32 s3, s3, s49
	s_mul_i32 s53, s24, s2
	s_mul_i32 s52, s2, s3
	s_mul_hi_u32 s54, s2, s53
	s_mul_hi_u32 s49, s2, s3
	s_add_u32 s52, s54, s52
	s_addc_u32 s49, 0, s49
	s_mul_hi_u32 s55, s48, s53
	s_mul_i32 s53, s48, s53
	s_add_u32 s52, s52, s53
	s_mul_hi_u32 s54, s48, s3
	s_addc_u32 s49, s49, s55
	s_addc_u32 s52, s54, 0
	s_mul_i32 s3, s48, s3
	s_add_u32 s3, s49, s3
	s_addc_u32 s49, 0, s52
	s_add_u32 s52, s2, s3
	s_cselect_b64 s[2:3], -1, 0
	s_cmp_lg_u64 s[2:3], 0
	s_addc_u32 s48, s48, s49
	s_mul_i32 s2, s24, s48
	s_mul_hi_u32 s3, s24, s52
	s_add_i32 s2, s3, s2
	s_mul_i32 s45, s45, s52
	s_add_i32 s2, s2, s45
	s_mul_i32 s24, s24, s52
	s_mul_hi_u32 s45, s48, s24
	s_mul_i32 s49, s48, s24
	s_mul_i32 s54, s52, s2
	s_mul_hi_u32 s24, s52, s24
	s_mul_hi_u32 s53, s52, s2
	s_add_u32 s24, s24, s54
	s_addc_u32 s53, 0, s53
	s_add_u32 s24, s24, s49
	s_mul_hi_u32 s3, s48, s2
	s_addc_u32 s24, s53, s45
	s_addc_u32 s3, s3, 0
	s_mul_i32 s2, s48, s2
	s_add_u32 s2, s24, s2
	s_addc_u32 s24, 0, s3
	s_add_u32 s45, s52, s2
	s_cselect_b64 s[2:3], -1, 0
	v_ashrrev_i32_e32 v1, 31, v4
	s_cmp_lg_u64 s[2:3], 0
	v_add_co_u32_e32 v7, vcc, v3, v1
	s_addc_u32 s24, s48, s24
	v_xor_b32_e32 v12, v7, v1
	v_mad_u64_u32 v[7:8], s[2:3], v12, s24, 0
	v_mul_hi_u32 v10, v12, s45
	v_addc_co_u32_e32 v9, vcc, v4, v1, vcc
	v_xor_b32_e32 v13, v9, v1
	v_add_co_u32_e32 v14, vcc, v10, v7
	v_addc_co_u32_e32 v15, vcc, 0, v8, vcc
	v_mad_u64_u32 v[7:8], s[2:3], v13, s45, 0
	v_mad_u64_u32 v[9:10], s[2:3], v13, s24, 0
	v_add_co_u32_e32 v7, vcc, v14, v7
	v_addc_co_u32_e32 v7, vcc, v15, v8, vcc
	v_addc_co_u32_e32 v8, vcc, 0, v10, vcc
	v_add_co_u32_e32 v9, vcc, v7, v9
	v_addc_co_u32_e32 v10, vcc, 0, v8, vcc
	v_mul_lo_u32 v14, s47, v9
	v_mul_lo_u32 v15, s46, v10
	v_mad_u64_u32 v[7:8], s[2:3], s46, v9, 0
	v_xor_b32_e32 v1, s44, v1
	v_add3_u32 v8, v8, v15, v14
	v_sub_u32_e32 v14, v13, v8
	v_mov_b32_e32 v15, s47
	v_sub_co_u32_e32 v7, vcc, v12, v7
	v_subb_co_u32_e64 v12, s[2:3], v14, v15, vcc
	v_subrev_co_u32_e64 v14, s[2:3], s46, v7
	v_subbrev_co_u32_e64 v12, s[2:3], 0, v12, s[2:3]
	v_cmp_le_u32_e64 s[2:3], s47, v12
	v_cndmask_b32_e64 v15, 0, -1, s[2:3]
	v_cmp_le_u32_e64 s[2:3], s46, v14
	v_cndmask_b32_e64 v14, 0, -1, s[2:3]
	v_cmp_eq_u32_e64 s[2:3], s47, v12
	v_cndmask_b32_e64 v12, v15, v14, s[2:3]
	v_add_co_u32_e64 v14, s[2:3], 2, v9
	v_subb_co_u32_e32 v8, vcc, v13, v8, vcc
	v_addc_co_u32_e64 v15, s[2:3], 0, v10, s[2:3]
	v_cmp_le_u32_e32 vcc, s47, v8
	v_add_co_u32_e64 v16, s[2:3], 1, v9
	v_cndmask_b32_e64 v13, 0, -1, vcc
	v_cmp_le_u32_e32 vcc, s46, v7
	v_addc_co_u32_e64 v17, s[2:3], 0, v10, s[2:3]
	v_cndmask_b32_e64 v7, 0, -1, vcc
	v_cmp_eq_u32_e32 vcc, s47, v8
	v_cmp_ne_u32_e64 s[2:3], 0, v12
	v_cndmask_b32_e32 v7, v13, v7, vcc
	v_cndmask_b32_e64 v12, v17, v15, s[2:3]
	v_cmp_ne_u32_e32 vcc, 0, v7
	v_cndmask_b32_e64 v8, v16, v14, s[2:3]
	v_cndmask_b32_e32 v7, v10, v12, vcc
	v_cndmask_b32_e32 v8, v9, v8, vcc
	v_xor_b32_e32 v9, v7, v1
	v_xor_b32_e32 v7, v8, v1
	v_sub_co_u32_e32 v7, vcc, v7, v1
	v_subb_co_u32_e32 v8, vcc, v9, v1, vcc
.LBB10_70:
	s_andn2_saveexec_b64 s[2:3], s[42:43]
	s_cbranch_execz .LBB10_72
; %bb.71:
	v_cvt_f32_u32_e32 v1, s16
	s_sub_i32 s24, 0, s16
	v_rcp_iflag_f32_e32 v1, v1
	v_mul_f32_e32 v1, 0x4f7ffffe, v1
	v_cvt_u32_f32_e32 v1, v1
	v_mul_lo_u32 v7, s24, v1
	v_mul_hi_u32 v7, v1, v7
	v_add_u32_e32 v1, v1, v7
	v_mul_hi_u32 v1, v3, v1
	v_mul_lo_u32 v7, v1, s16
	v_add_u32_e32 v8, 1, v1
	v_sub_u32_e32 v7, v3, v7
	v_subrev_u32_e32 v9, s16, v7
	v_cmp_le_u32_e32 vcc, s16, v7
	v_cndmask_b32_e32 v7, v7, v9, vcc
	v_cndmask_b32_e32 v1, v1, v8, vcc
	v_add_u32_e32 v8, 1, v1
	v_cmp_le_u32_e32 vcc, s16, v7
	v_cndmask_b32_e32 v7, v1, v8, vcc
	v_mov_b32_e32 v8, 0
.LBB10_72:
	s_or_b64 exec, exec, s[2:3]
	v_mul_lo_u32 v1, v6, s16
	v_mul_lo_u32 v12, v5, s17
	v_mad_u64_u32 v[9:10], s[2:3], v5, s16, 0
	v_add3_u32 v10, v10, v12, v1
	v_cmp_gt_i64_e32 vcc, v[9:10], v[3:4]
	v_mov_b32_e32 v1, s15
	v_add_co_u32_e64 v9, s[2:3], s14, v9
	v_addc_co_u32_e64 v10, s[2:3], v10, v1, s[2:3]
	v_cmp_ge_i64_e64 s[2:3], v[3:4], v[9:10]
	s_or_b64 s[2:3], vcc, s[2:3]
	v_cndmask_b32_e64 v1, 0, 1, s[2:3]
	v_add_co_u32_e32 v9, vcc, v5, v1
	v_addc_co_u32_e32 v10, vcc, 0, v6, vcc
	v_cmp_gt_i64_e32 vcc, s[4:5], v[7:8]
	v_mov_b32_e32 v1, s5
	v_cndmask_b32_e32 v6, v1, v8, vcc
	v_mov_b32_e32 v1, s4
	v_cndmask_b32_e32 v5, v1, v7, vcc
	v_cmp_le_i64_e32 vcc, v[9:10], v[5:6]
	s_and_saveexec_b64 s[42:43], vcc
	s_cbranch_execz .LBB10_75
; %bb.73:
	global_load_ubyte v12, v2, s[8:9]
	v_mul_lo_u32 v14, s17, v9
	v_mul_lo_u32 v15, s16, v10
	v_mad_u64_u32 v[7:8], s[2:3], s16, v9, 0
	v_mov_b32_e32 v13, s9
	v_add_co_u32_e32 v1, vcc, s8, v2
	v_addc_co_u32_e32 v2, vcc, 0, v13, vcc
	v_add3_u32 v8, v8, v15, v14
	v_mul_lo_u32 v15, s21, v9
	v_mul_lo_u32 v16, s20, v10
	v_mad_u64_u32 v[13:14], s[2:3], s20, v9, 0
	v_sub_co_u32_e32 v3, vcc, v3, v7
	v_subb_co_u32_e32 v4, vcc, v4, v8, vcc
	v_add3_u32 v14, v14, v16, v15
	v_mad_u64_u32 v[7:8], s[2:3], s22, v3, v[13:14]
	v_mul_lo_u32 v13, s22, v4
	v_mul_lo_u32 v14, s23, v3
	v_add_co_u32_e32 v3, vcc, -1, v9
	v_addc_co_u32_e32 v4, vcc, -1, v10, vcc
	s_mul_i32 s2, s16, s23
	s_mul_hi_u32 s3, s16, s22
	v_add3_u32 v8, v14, v8, v13
	v_add_co_u32_e32 v0, vcc, v7, v0
	s_add_i32 s2, s3, s2
	s_mul_i32 s3, s17, s22
	v_addc_co_u32_e32 v8, vcc, 0, v8, vcc
	s_add_i32 s2, s2, s3
	s_mul_i32 s3, s16, s22
	v_mov_b32_e32 v9, s11
	v_add_co_u32_e32 v7, vcc, s10, v0
	s_sub_u32 s24, s20, s3
	v_addc_co_u32_e32 v8, vcc, v9, v8, vcc
	s_subb_u32 s46, s21, s2
	s_mov_b64 s[44:45], 0
.LBB10_74:                              ; =>This Inner Loop Header: Depth=1
	global_load_ubyte v0, v[7:8], off
	v_add_co_u32_e32 v3, vcc, 1, v3
	v_addc_co_u32_e32 v4, vcc, 0, v4, vcc
	v_cmp_ge_i64_e64 s[2:3], v[3:4], v[5:6]
	v_mov_b32_e32 v9, s46
	v_add_co_u32_e32 v7, vcc, s24, v7
	v_addc_co_u32_e32 v8, vcc, v8, v9, vcc
	s_or_b64 s[44:45], s[2:3], s[44:45]
	s_waitcnt vmcnt(0)
	v_or_b32_e32 v12, v0, v12
	global_store_byte v[1:2], v12, off
	s_andn2_b64 exec, exec, s[44:45]
	s_cbranch_execnz .LBB10_74
.LBB10_75:
	s_or_b64 exec, exec, s[42:43]
	v_add_u32_e32 v11, 0x100, v11
	s_or_b64 exec, exec, s[18:19]
	v_cmp_gt_i32_e32 vcc, s51, v11
	s_and_saveexec_b64 s[2:3], vcc
	s_cbranch_execz .LBB10_99
.LBB10_76:
	s_and_b64 vcc, exec, s[0:1]
	s_cbranch_vccnz .LBB10_83
; %bb.77:
	v_mov_b32_e32 v2, 0
	s_andn2_b64 vcc, exec, s[40:41]
	v_mov_b32_e32 v0, 0
	v_mov_b32_e32 v4, 0
	s_cbranch_vccnz .LBB10_82
; %bb.78:
	s_add_i32 s0, s31, 1
	s_and_b32 s2, s0, 30
	s_add_u32 s0, s33, 0xffffffe8
	s_addc_u32 s1, s50, -1
	v_mov_b32_e32 v4, 0
	v_mov_b32_e32 v0, 0
	;; [unrolled: 1-line block ×4, first 2 shown]
.LBB10_79:                              ; =>This Inner Loop Header: Depth=1
	s_load_dwordx4 s[40:43], s[0:1], 0x1c
	s_load_dwordx2 s[18:19], s[0:1], 0x2c
	s_load_dwordx2 s[48:49], s[0:1], 0xec
	s_load_dwordx4 s[44:47], s[0:1], 0xdc
	s_add_u32 s0, s0, 24
	s_waitcnt lgkmcnt(0)
	v_mul_hi_u32 v3, s41, v1
	s_addc_u32 s1, s1, 0
	s_add_i32 s2, s2, -2
	s_cmp_eq_u32 s2, 0
	v_add_u32_e32 v3, v1, v3
	v_lshrrev_b32_e32 v3, s42, v3
	v_mul_lo_u32 v5, v3, s40
	v_mul_hi_u32 v6, s18, v3
	v_sub_u32_e32 v5, v1, v5
	v_add_u32_e32 v1, v3, v6
	v_lshrrev_b32_e32 v1, s19, v1
	v_mul_lo_u32 v8, v1, s43
	v_mul_lo_u32 v6, v5, s44
	;; [unrolled: 1-line block ×4, first 2 shown]
	v_sub_u32_e32 v3, v3, v8
	v_mul_lo_u32 v8, v3, s47
	v_mul_lo_u32 v9, v3, s48
	;; [unrolled: 1-line block ×3, first 2 shown]
	v_add3_u32 v2, v6, v2, v8
	v_add3_u32 v0, v7, v0, v9
	;; [unrolled: 1-line block ×3, first 2 shown]
	s_cbranch_scc0 .LBB10_79
; %bb.80:
	s_bitcmp1_b32 s31, 0
	s_cselect_b64 s[2:3], -1, 0
	s_and_b64 vcc, exec, s[2:3]
	s_cbranch_vccnz .LBB10_82
; %bb.81:
	s_load_dwordx2 s[2:3], s[0:1], 0x1c
	s_load_dword s24, s[0:1], 0x24
	s_load_dwordx2 s[18:19], s[0:1], 0xdc
	s_waitcnt lgkmcnt(0)
	v_mul_hi_u32 v3, s3, v1
	v_add_u32_e32 v3, v1, v3
	v_lshrrev_b32_e32 v3, s24, v3
	v_mul_lo_u32 v3, v3, s2
	s_load_dword s2, s[0:1], 0xe4
	v_sub_u32_e32 v5, v1, v3
	v_mad_u64_u32 v[2:3], s[0:1], v5, s18, v[2:3]
	v_mad_u64_u32 v[0:1], s[0:1], v5, s19, v[0:1]
	s_waitcnt lgkmcnt(0)
	v_mad_u64_u32 v[4:5], s[0:1], v5, s2, v[4:5]
.LBB10_82:
	s_cbranch_execz .LBB10_84
	s_branch .LBB10_86
.LBB10_83:
                                        ; implicit-def: $vgpr2
                                        ; implicit-def: $vgpr0
                                        ; implicit-def: $vgpr4
.LBB10_84:
	v_mul_hi_u32 v0, s26, v11
	s_andn2_b64 vcc, exec, s[34:35]
	v_add_u32_e32 v0, v11, v0
	v_lshrrev_b32_e32 v1, s27, v0
	v_mul_lo_u32 v0, v1, s25
	v_sub_u32_e32 v3, v11, v0
	v_mul_lo_u32 v2, v3, s36
	v_mul_lo_u32 v0, v3, s37
	v_mul_lo_u32 v4, v3, s38
	s_cbranch_vccnz .LBB10_86
; %bb.85:
	v_mul_hi_u32 v3, s29, v1
	v_add_u32_e32 v3, v1, v3
	v_lshrrev_b32_e32 v3, s30, v3
	v_mul_lo_u32 v3, v3, s28
	v_sub_u32_e32 v5, v1, v3
	v_mad_u64_u32 v[2:3], s[0:1], v5, s39, v[2:3]
	v_mad_u64_u32 v[0:1], s[0:1], v5, s6, v[0:1]
	;; [unrolled: 1-line block ×3, first 2 shown]
.LBB10_86:
	global_load_dwordx2 v[3:4], v4, s[12:13]
	v_mov_b32_e32 v5, 0
	v_mov_b32_e32 v6, 0
	s_waitcnt vmcnt(0)
	v_cmp_lt_i64_e32 vcc, s[14:15], v[3:4]
	s_and_saveexec_b64 s[2:3], vcc
	s_cbranch_execz .LBB10_92
; %bb.87:
	v_mov_b32_e32 v5, s15
	v_subrev_co_u32_e32 v1, vcc, s14, v3
	v_subb_co_u32_e32 v7, vcc, v4, v5, vcc
	v_or_b32_e32 v6, s17, v7
	v_mov_b32_e32 v5, 0
	v_cmp_ne_u64_e32 vcc, 0, v[5:6]
                                        ; implicit-def: $vgpr5_vgpr6
	s_and_saveexec_b64 s[0:1], vcc
	s_xor_b64 s[6:7], exec, s[0:1]
	s_cbranch_execz .LBB10_89
; %bb.88:
	s_ashr_i32 s12, s17, 31
	s_add_u32 s0, s16, s12
	s_mov_b32 s13, s12
	s_addc_u32 s1, s17, s12
	s_xor_b64 s[18:19], s[0:1], s[12:13]
	v_cvt_f32_u32_e32 v5, s18
	v_cvt_f32_u32_e32 v6, s19
	s_sub_u32 s13, 0, s18
	s_subb_u32 s24, 0, s19
	v_ashrrev_i32_e32 v9, 31, v7
	v_madmk_f32 v5, v6, 0x4f800000, v5
	v_rcp_f32_e32 v5, v5
	v_add_co_u32_e32 v1, vcc, v1, v9
	v_xor_b32_e32 v1, v1, v9
	v_mul_f32_e32 v5, 0x5f7ffffc, v5
	v_mul_f32_e32 v6, 0x2f800000, v5
	v_trunc_f32_e32 v6, v6
	v_madmk_f32 v5, v6, 0xcf800000, v5
	v_cvt_u32_f32_e32 v6, v6
	v_cvt_u32_f32_e32 v5, v5
	v_addc_co_u32_e32 v7, vcc, v7, v9, vcc
	v_readfirstlane_b32 s25, v6
	v_readfirstlane_b32 s0, v5
	s_mul_i32 s1, s13, s25
	s_mul_hi_u32 s27, s13, s0
	s_mul_i32 s26, s24, s0
	s_add_i32 s1, s27, s1
	s_add_i32 s1, s1, s26
	s_mul_i32 s28, s13, s0
	s_mul_i32 s27, s0, s1
	s_mul_hi_u32 s29, s0, s28
	s_mul_hi_u32 s26, s0, s1
	s_add_u32 s27, s29, s27
	s_addc_u32 s26, 0, s26
	s_mul_hi_u32 s30, s25, s28
	s_mul_i32 s28, s25, s28
	s_add_u32 s27, s27, s28
	s_mul_hi_u32 s29, s25, s1
	s_addc_u32 s26, s26, s30
	s_addc_u32 s27, s29, 0
	s_mul_i32 s1, s25, s1
	s_add_u32 s1, s26, s1
	s_addc_u32 s26, 0, s27
	s_add_u32 s27, s0, s1
	s_cselect_b64 s[0:1], -1, 0
	s_cmp_lg_u64 s[0:1], 0
	s_addc_u32 s25, s25, s26
	s_mul_i32 s0, s13, s25
	s_mul_hi_u32 s1, s13, s27
	s_add_i32 s0, s1, s0
	s_mul_i32 s24, s24, s27
	s_add_i32 s0, s0, s24
	s_mul_i32 s13, s13, s27
	s_mul_hi_u32 s24, s25, s13
	s_mul_i32 s26, s25, s13
	s_mul_i32 s29, s27, s0
	s_mul_hi_u32 s13, s27, s13
	s_mul_hi_u32 s28, s27, s0
	s_add_u32 s13, s13, s29
	s_addc_u32 s28, 0, s28
	s_add_u32 s13, s13, s26
	s_mul_hi_u32 s1, s25, s0
	s_addc_u32 s13, s28, s24
	s_addc_u32 s1, s1, 0
	s_mul_i32 s0, s25, s0
	s_add_u32 s0, s13, s0
	s_addc_u32 s13, 0, s1
	s_add_u32 s24, s27, s0
	s_cselect_b64 s[0:1], -1, 0
	s_cmp_lg_u64 s[0:1], 0
	s_addc_u32 s13, s25, s13
	v_mad_u64_u32 v[5:6], s[0:1], v1, s13, 0
	v_mul_hi_u32 v8, v1, s24
	v_xor_b32_e32 v10, v7, v9
	v_add_co_u32_e32 v11, vcc, v8, v5
	v_addc_co_u32_e32 v12, vcc, 0, v6, vcc
	v_mad_u64_u32 v[5:6], s[0:1], v10, s24, 0
	v_mad_u64_u32 v[7:8], s[0:1], v10, s13, 0
	v_add_co_u32_e32 v5, vcc, v11, v5
	v_addc_co_u32_e32 v5, vcc, v12, v6, vcc
	v_addc_co_u32_e32 v6, vcc, 0, v8, vcc
	v_add_co_u32_e32 v7, vcc, v5, v7
	v_addc_co_u32_e32 v8, vcc, 0, v6, vcc
	v_mul_lo_u32 v11, s19, v7
	v_mul_lo_u32 v12, s18, v8
	v_mad_u64_u32 v[5:6], s[0:1], s18, v7, 0
	v_add3_u32 v6, v6, v12, v11
	v_sub_u32_e32 v11, v10, v6
	v_mov_b32_e32 v12, s19
	v_sub_co_u32_e32 v1, vcc, v1, v5
	v_subb_co_u32_e64 v5, s[0:1], v11, v12, vcc
	v_subrev_co_u32_e64 v11, s[0:1], s18, v1
	v_subbrev_co_u32_e64 v5, s[0:1], 0, v5, s[0:1]
	v_cmp_le_u32_e64 s[0:1], s19, v5
	v_cndmask_b32_e64 v12, 0, -1, s[0:1]
	v_cmp_le_u32_e64 s[0:1], s18, v11
	v_cndmask_b32_e64 v11, 0, -1, s[0:1]
	v_cmp_eq_u32_e64 s[0:1], s19, v5
	v_cndmask_b32_e64 v5, v12, v11, s[0:1]
	v_add_co_u32_e64 v11, s[0:1], 2, v7
	v_subb_co_u32_e32 v6, vcc, v10, v6, vcc
	v_addc_co_u32_e64 v12, s[0:1], 0, v8, s[0:1]
	v_cmp_le_u32_e32 vcc, s19, v6
	v_add_co_u32_e64 v13, s[0:1], 1, v7
	v_cndmask_b32_e64 v10, 0, -1, vcc
	v_cmp_le_u32_e32 vcc, s18, v1
	v_addc_co_u32_e64 v14, s[0:1], 0, v8, s[0:1]
	v_cndmask_b32_e64 v1, 0, -1, vcc
	v_cmp_eq_u32_e32 vcc, s19, v6
	v_cmp_ne_u32_e64 s[0:1], 0, v5
	v_cndmask_b32_e32 v1, v10, v1, vcc
	v_cndmask_b32_e64 v5, v14, v12, s[0:1]
	v_cmp_ne_u32_e32 vcc, 0, v1
	v_cndmask_b32_e32 v1, v8, v5, vcc
	v_cndmask_b32_e64 v5, v13, v11, s[0:1]
	v_cndmask_b32_e32 v5, v7, v5, vcc
	v_xor_b32_e32 v6, s12, v9
	v_xor_b32_e32 v5, v5, v6
	;; [unrolled: 1-line block ×3, first 2 shown]
	v_sub_co_u32_e32 v5, vcc, v5, v6
	v_subb_co_u32_e32 v6, vcc, v1, v6, vcc
                                        ; implicit-def: $vgpr1
.LBB10_89:
	s_andn2_saveexec_b64 s[0:1], s[6:7]
	s_cbranch_execz .LBB10_91
; %bb.90:
	v_cvt_f32_u32_e32 v5, s16
	s_sub_i32 s6, 0, s16
	v_rcp_iflag_f32_e32 v5, v5
	v_mul_f32_e32 v5, 0x4f7ffffe, v5
	v_cvt_u32_f32_e32 v5, v5
	v_mul_lo_u32 v6, s6, v5
	v_mul_hi_u32 v6, v5, v6
	v_add_u32_e32 v5, v5, v6
	v_mul_hi_u32 v5, v1, v5
	v_mul_lo_u32 v6, v5, s16
	v_add_u32_e32 v7, 1, v5
	v_sub_u32_e32 v1, v1, v6
	v_subrev_u32_e32 v6, s16, v1
	v_cmp_le_u32_e32 vcc, s16, v1
	v_cndmask_b32_e32 v1, v1, v6, vcc
	v_cndmask_b32_e32 v5, v5, v7, vcc
	v_add_u32_e32 v6, 1, v5
	v_cmp_le_u32_e32 vcc, s16, v1
	v_cndmask_b32_e32 v5, v5, v6, vcc
	v_mov_b32_e32 v6, 0
.LBB10_91:
	s_or_b64 exec, exec, s[0:1]
.LBB10_92:
	s_or_b64 exec, exec, s[2:3]
	v_or_b32_e32 v8, s17, v4
	v_mov_b32_e32 v7, 0
	v_cmp_ne_u64_e32 vcc, 0, v[7:8]
                                        ; implicit-def: $vgpr7_vgpr8
	s_and_saveexec_b64 s[0:1], vcc
	s_xor_b64 s[2:3], exec, s[0:1]
	s_cbranch_execz .LBB10_94
; %bb.93:
	s_ashr_i32 s6, s17, 31
	s_add_u32 s0, s16, s6
	s_mov_b32 s7, s6
	s_addc_u32 s1, s17, s6
	s_xor_b64 s[12:13], s[0:1], s[6:7]
	v_cvt_f32_u32_e32 v1, s12
	v_cvt_f32_u32_e32 v7, s13
	s_sub_u32 s7, 0, s12
	s_subb_u32 s18, 0, s13
	v_madmk_f32 v1, v7, 0x4f800000, v1
	v_rcp_f32_e32 v1, v1
	v_mul_f32_e32 v1, 0x5f7ffffc, v1
	v_mul_f32_e32 v7, 0x2f800000, v1
	v_trunc_f32_e32 v7, v7
	v_madmk_f32 v1, v7, 0xcf800000, v1
	v_cvt_u32_f32_e32 v7, v7
	v_cvt_u32_f32_e32 v1, v1
	v_readfirstlane_b32 s19, v7
	v_readfirstlane_b32 s0, v1
	s_mul_i32 s1, s7, s19
	s_mul_hi_u32 s25, s7, s0
	s_mul_i32 s24, s18, s0
	s_add_i32 s1, s25, s1
	s_add_i32 s1, s1, s24
	s_mul_i32 s26, s7, s0
	s_mul_i32 s25, s0, s1
	s_mul_hi_u32 s27, s0, s26
	s_mul_hi_u32 s24, s0, s1
	s_add_u32 s25, s27, s25
	s_addc_u32 s24, 0, s24
	s_mul_hi_u32 s28, s19, s26
	s_mul_i32 s26, s19, s26
	s_add_u32 s25, s25, s26
	s_mul_hi_u32 s27, s19, s1
	s_addc_u32 s24, s24, s28
	s_addc_u32 s25, s27, 0
	s_mul_i32 s1, s19, s1
	s_add_u32 s1, s24, s1
	s_addc_u32 s24, 0, s25
	s_add_u32 s25, s0, s1
	s_cselect_b64 s[0:1], -1, 0
	s_cmp_lg_u64 s[0:1], 0
	s_addc_u32 s19, s19, s24
	s_mul_i32 s0, s7, s19
	s_mul_hi_u32 s1, s7, s25
	s_add_i32 s0, s1, s0
	s_mul_i32 s18, s18, s25
	s_add_i32 s0, s0, s18
	s_mul_i32 s7, s7, s25
	s_mul_hi_u32 s18, s19, s7
	s_mul_i32 s24, s19, s7
	s_mul_i32 s27, s25, s0
	s_mul_hi_u32 s7, s25, s7
	s_mul_hi_u32 s26, s25, s0
	s_add_u32 s7, s7, s27
	s_addc_u32 s26, 0, s26
	s_add_u32 s7, s7, s24
	s_mul_hi_u32 s1, s19, s0
	s_addc_u32 s7, s26, s18
	s_addc_u32 s1, s1, 0
	s_mul_i32 s0, s19, s0
	s_add_u32 s0, s7, s0
	s_addc_u32 s7, 0, s1
	s_add_u32 s18, s25, s0
	s_cselect_b64 s[0:1], -1, 0
	v_ashrrev_i32_e32 v1, 31, v4
	s_cmp_lg_u64 s[0:1], 0
	v_add_co_u32_e32 v7, vcc, v3, v1
	s_addc_u32 s7, s19, s7
	v_xor_b32_e32 v11, v7, v1
	v_mad_u64_u32 v[7:8], s[0:1], v11, s7, 0
	v_mul_hi_u32 v10, v11, s18
	v_addc_co_u32_e32 v9, vcc, v4, v1, vcc
	v_xor_b32_e32 v12, v9, v1
	v_add_co_u32_e32 v13, vcc, v10, v7
	v_addc_co_u32_e32 v14, vcc, 0, v8, vcc
	v_mad_u64_u32 v[7:8], s[0:1], v12, s18, 0
	v_mad_u64_u32 v[9:10], s[0:1], v12, s7, 0
	v_add_co_u32_e32 v7, vcc, v13, v7
	v_addc_co_u32_e32 v7, vcc, v14, v8, vcc
	v_addc_co_u32_e32 v8, vcc, 0, v10, vcc
	v_add_co_u32_e32 v9, vcc, v7, v9
	v_addc_co_u32_e32 v10, vcc, 0, v8, vcc
	v_mul_lo_u32 v13, s13, v9
	v_mul_lo_u32 v14, s12, v10
	v_mad_u64_u32 v[7:8], s[0:1], s12, v9, 0
	v_xor_b32_e32 v1, s6, v1
	v_add3_u32 v8, v8, v14, v13
	v_sub_u32_e32 v13, v12, v8
	v_mov_b32_e32 v14, s13
	v_sub_co_u32_e32 v7, vcc, v11, v7
	v_subb_co_u32_e64 v11, s[0:1], v13, v14, vcc
	v_subrev_co_u32_e64 v13, s[0:1], s12, v7
	v_subbrev_co_u32_e64 v11, s[0:1], 0, v11, s[0:1]
	v_cmp_le_u32_e64 s[0:1], s13, v11
	v_cndmask_b32_e64 v14, 0, -1, s[0:1]
	v_cmp_le_u32_e64 s[0:1], s12, v13
	v_cndmask_b32_e64 v13, 0, -1, s[0:1]
	v_cmp_eq_u32_e64 s[0:1], s13, v11
	v_cndmask_b32_e64 v11, v14, v13, s[0:1]
	v_add_co_u32_e64 v13, s[0:1], 2, v9
	v_subb_co_u32_e32 v8, vcc, v12, v8, vcc
	v_addc_co_u32_e64 v14, s[0:1], 0, v10, s[0:1]
	v_cmp_le_u32_e32 vcc, s13, v8
	v_add_co_u32_e64 v15, s[0:1], 1, v9
	v_cndmask_b32_e64 v12, 0, -1, vcc
	v_cmp_le_u32_e32 vcc, s12, v7
	v_addc_co_u32_e64 v16, s[0:1], 0, v10, s[0:1]
	v_cndmask_b32_e64 v7, 0, -1, vcc
	v_cmp_eq_u32_e32 vcc, s13, v8
	v_cmp_ne_u32_e64 s[0:1], 0, v11
	v_cndmask_b32_e32 v7, v12, v7, vcc
	v_cndmask_b32_e64 v11, v16, v14, s[0:1]
	v_cmp_ne_u32_e32 vcc, 0, v7
	v_cndmask_b32_e64 v8, v15, v13, s[0:1]
	v_cndmask_b32_e32 v7, v10, v11, vcc
	v_cndmask_b32_e32 v8, v9, v8, vcc
	v_xor_b32_e32 v9, v7, v1
	v_xor_b32_e32 v7, v8, v1
	v_sub_co_u32_e32 v7, vcc, v7, v1
	v_subb_co_u32_e32 v8, vcc, v9, v1, vcc
.LBB10_94:
	s_andn2_saveexec_b64 s[0:1], s[2:3]
	s_cbranch_execz .LBB10_96
; %bb.95:
	v_cvt_f32_u32_e32 v1, s16
	s_sub_i32 s2, 0, s16
	v_rcp_iflag_f32_e32 v1, v1
	v_mul_f32_e32 v1, 0x4f7ffffe, v1
	v_cvt_u32_f32_e32 v1, v1
	v_mul_lo_u32 v7, s2, v1
	v_mul_hi_u32 v7, v1, v7
	v_add_u32_e32 v1, v1, v7
	v_mul_hi_u32 v1, v3, v1
	v_mul_lo_u32 v7, v1, s16
	v_add_u32_e32 v8, 1, v1
	v_sub_u32_e32 v7, v3, v7
	v_subrev_u32_e32 v9, s16, v7
	v_cmp_le_u32_e32 vcc, s16, v7
	v_cndmask_b32_e32 v7, v7, v9, vcc
	v_cndmask_b32_e32 v1, v1, v8, vcc
	v_add_u32_e32 v8, 1, v1
	v_cmp_le_u32_e32 vcc, s16, v7
	v_cndmask_b32_e32 v7, v1, v8, vcc
	v_mov_b32_e32 v8, 0
.LBB10_96:
	s_or_b64 exec, exec, s[0:1]
	v_mul_lo_u32 v1, v6, s16
	v_mul_lo_u32 v11, v5, s17
	v_mad_u64_u32 v[9:10], s[0:1], v5, s16, 0
	v_add3_u32 v10, v10, v11, v1
	v_cmp_gt_i64_e32 vcc, v[9:10], v[3:4]
	v_mov_b32_e32 v1, s15
	v_add_co_u32_e64 v9, s[0:1], s14, v9
	v_addc_co_u32_e64 v10, s[0:1], v10, v1, s[0:1]
	v_cmp_ge_i64_e64 s[0:1], v[3:4], v[9:10]
	s_or_b64 s[0:1], vcc, s[0:1]
	v_cndmask_b32_e64 v1, 0, 1, s[0:1]
	v_add_co_u32_e32 v9, vcc, v5, v1
	v_addc_co_u32_e32 v10, vcc, 0, v6, vcc
	v_cmp_gt_i64_e32 vcc, s[4:5], v[7:8]
	v_mov_b32_e32 v1, s5
	v_cndmask_b32_e32 v6, v1, v8, vcc
	v_mov_b32_e32 v1, s4
	v_cndmask_b32_e32 v5, v1, v7, vcc
	v_cmp_le_i64_e32 vcc, v[9:10], v[5:6]
	s_and_b64 exec, exec, vcc
	s_cbranch_execz .LBB10_99
; %bb.97:
	global_load_ubyte v11, v2, s[8:9]
	v_mul_lo_u32 v13, s17, v9
	v_mul_lo_u32 v14, s16, v10
	v_mad_u64_u32 v[7:8], s[0:1], s16, v9, 0
	v_mov_b32_e32 v12, s9
	v_add_co_u32_e32 v1, vcc, s8, v2
	v_addc_co_u32_e32 v2, vcc, 0, v12, vcc
	v_add3_u32 v8, v8, v14, v13
	v_mul_lo_u32 v14, s21, v9
	v_mul_lo_u32 v15, s20, v10
	v_mad_u64_u32 v[12:13], s[0:1], s20, v9, 0
	v_sub_co_u32_e32 v3, vcc, v3, v7
	v_subb_co_u32_e32 v4, vcc, v4, v8, vcc
	v_add3_u32 v13, v13, v15, v14
	v_mad_u64_u32 v[7:8], s[0:1], s22, v3, v[12:13]
	v_mul_lo_u32 v12, s22, v4
	v_mul_lo_u32 v13, s23, v3
	v_add_co_u32_e32 v3, vcc, -1, v9
	v_addc_co_u32_e32 v4, vcc, -1, v10, vcc
	s_mul_i32 s0, s16, s23
	s_mul_hi_u32 s1, s16, s22
	v_add3_u32 v8, v13, v8, v12
	v_add_co_u32_e32 v0, vcc, v7, v0
	s_add_i32 s0, s1, s0
	s_mul_i32 s1, s17, s22
	v_addc_co_u32_e32 v8, vcc, 0, v8, vcc
	s_add_i32 s0, s0, s1
	s_mul_i32 s1, s16, s22
	v_mov_b32_e32 v9, s11
	v_add_co_u32_e32 v7, vcc, s10, v0
	s_sub_u32 s4, s20, s1
	v_addc_co_u32_e32 v8, vcc, v9, v8, vcc
	s_subb_u32 s5, s21, s0
	s_mov_b64 s[2:3], 0
.LBB10_98:                              ; =>This Inner Loop Header: Depth=1
	global_load_ubyte v0, v[7:8], off
	v_add_co_u32_e32 v3, vcc, 1, v3
	v_addc_co_u32_e32 v4, vcc, 0, v4, vcc
	v_cmp_ge_i64_e64 s[0:1], v[3:4], v[5:6]
	v_mov_b32_e32 v9, s5
	v_add_co_u32_e32 v7, vcc, s4, v7
	v_addc_co_u32_e32 v8, vcc, v8, v9, vcc
	s_or_b64 s[2:3], s[0:1], s[2:3]
	s_waitcnt vmcnt(0)
	v_or_b32_e32 v11, v0, v11
	global_store_byte v[1:2], v11, off
	s_andn2_b64 exec, exec, s[2:3]
	s_cbranch_execnz .LBB10_98
.LBB10_99:
	s_endpgm
	.section	.rodata,"a",@progbits
	.p2align	6, 0x0
	.amdhsa_kernel _ZN2at6native12_GLOBAL__N_135_unfold_backward_elementwise_kernelILi256ELi4EZNS1_32_unfold_backward_internal_kernelIbEEvRNS_14TensorIteratorEllllllEUliE_EEviT1_
		.amdhsa_group_segment_fixed_size 0
		.amdhsa_private_segment_fixed_size 0
		.amdhsa_kernarg_size 464
		.amdhsa_user_sgpr_count 6
		.amdhsa_user_sgpr_private_segment_buffer 1
		.amdhsa_user_sgpr_dispatch_ptr 0
		.amdhsa_user_sgpr_queue_ptr 0
		.amdhsa_user_sgpr_kernarg_segment_ptr 1
		.amdhsa_user_sgpr_dispatch_id 0
		.amdhsa_user_sgpr_flat_scratch_init 0
		.amdhsa_user_sgpr_private_segment_size 0
		.amdhsa_uses_dynamic_stack 0
		.amdhsa_system_sgpr_private_segment_wavefront_offset 0
		.amdhsa_system_sgpr_workgroup_id_x 1
		.amdhsa_system_sgpr_workgroup_id_y 0
		.amdhsa_system_sgpr_workgroup_id_z 0
		.amdhsa_system_sgpr_workgroup_info 0
		.amdhsa_system_vgpr_workitem_id 0
		.amdhsa_next_free_vgpr 18
		.amdhsa_next_free_sgpr 58
		.amdhsa_reserve_vcc 1
		.amdhsa_reserve_flat_scratch 0
		.amdhsa_float_round_mode_32 0
		.amdhsa_float_round_mode_16_64 0
		.amdhsa_float_denorm_mode_32 3
		.amdhsa_float_denorm_mode_16_64 3
		.amdhsa_dx10_clamp 1
		.amdhsa_ieee_mode 1
		.amdhsa_fp16_overflow 0
		.amdhsa_exception_fp_ieee_invalid_op 0
		.amdhsa_exception_fp_denorm_src 0
		.amdhsa_exception_fp_ieee_div_zero 0
		.amdhsa_exception_fp_ieee_overflow 0
		.amdhsa_exception_fp_ieee_underflow 0
		.amdhsa_exception_fp_ieee_inexact 0
		.amdhsa_exception_int_div_zero 0
	.end_amdhsa_kernel
	.section	.text._ZN2at6native12_GLOBAL__N_135_unfold_backward_elementwise_kernelILi256ELi4EZNS1_32_unfold_backward_internal_kernelIbEEvRNS_14TensorIteratorEllllllEUliE_EEviT1_,"axG",@progbits,_ZN2at6native12_GLOBAL__N_135_unfold_backward_elementwise_kernelILi256ELi4EZNS1_32_unfold_backward_internal_kernelIbEEvRNS_14TensorIteratorEllllllEUliE_EEviT1_,comdat
.Lfunc_end10:
	.size	_ZN2at6native12_GLOBAL__N_135_unfold_backward_elementwise_kernelILi256ELi4EZNS1_32_unfold_backward_internal_kernelIbEEvRNS_14TensorIteratorEllllllEUliE_EEviT1_, .Lfunc_end10-_ZN2at6native12_GLOBAL__N_135_unfold_backward_elementwise_kernelILi256ELi4EZNS1_32_unfold_backward_internal_kernelIbEEvRNS_14TensorIteratorEllllllEUliE_EEviT1_
                                        ; -- End function
	.set _ZN2at6native12_GLOBAL__N_135_unfold_backward_elementwise_kernelILi256ELi4EZNS1_32_unfold_backward_internal_kernelIbEEvRNS_14TensorIteratorEllllllEUliE_EEviT1_.num_vgpr, 18
	.set _ZN2at6native12_GLOBAL__N_135_unfold_backward_elementwise_kernelILi256ELi4EZNS1_32_unfold_backward_internal_kernelIbEEvRNS_14TensorIteratorEllllllEUliE_EEviT1_.num_agpr, 0
	.set _ZN2at6native12_GLOBAL__N_135_unfold_backward_elementwise_kernelILi256ELi4EZNS1_32_unfold_backward_internal_kernelIbEEvRNS_14TensorIteratorEllllllEUliE_EEviT1_.numbered_sgpr, 58
	.set _ZN2at6native12_GLOBAL__N_135_unfold_backward_elementwise_kernelILi256ELi4EZNS1_32_unfold_backward_internal_kernelIbEEvRNS_14TensorIteratorEllllllEUliE_EEviT1_.num_named_barrier, 0
	.set _ZN2at6native12_GLOBAL__N_135_unfold_backward_elementwise_kernelILi256ELi4EZNS1_32_unfold_backward_internal_kernelIbEEvRNS_14TensorIteratorEllllllEUliE_EEviT1_.private_seg_size, 0
	.set _ZN2at6native12_GLOBAL__N_135_unfold_backward_elementwise_kernelILi256ELi4EZNS1_32_unfold_backward_internal_kernelIbEEvRNS_14TensorIteratorEllllllEUliE_EEviT1_.uses_vcc, 1
	.set _ZN2at6native12_GLOBAL__N_135_unfold_backward_elementwise_kernelILi256ELi4EZNS1_32_unfold_backward_internal_kernelIbEEvRNS_14TensorIteratorEllllllEUliE_EEviT1_.uses_flat_scratch, 0
	.set _ZN2at6native12_GLOBAL__N_135_unfold_backward_elementwise_kernelILi256ELi4EZNS1_32_unfold_backward_internal_kernelIbEEvRNS_14TensorIteratorEllllllEUliE_EEviT1_.has_dyn_sized_stack, 0
	.set _ZN2at6native12_GLOBAL__N_135_unfold_backward_elementwise_kernelILi256ELi4EZNS1_32_unfold_backward_internal_kernelIbEEvRNS_14TensorIteratorEllllllEUliE_EEviT1_.has_recursion, 0
	.set _ZN2at6native12_GLOBAL__N_135_unfold_backward_elementwise_kernelILi256ELi4EZNS1_32_unfold_backward_internal_kernelIbEEvRNS_14TensorIteratorEllllllEUliE_EEviT1_.has_indirect_call, 0
	.section	.AMDGPU.csdata,"",@progbits
; Kernel info:
; codeLenInByte = 9832
; TotalNumSgprs: 62
; NumVgprs: 18
; ScratchSize: 0
; MemoryBound: 0
; FloatMode: 240
; IeeeMode: 1
; LDSByteSize: 0 bytes/workgroup (compile time only)
; SGPRBlocks: 7
; VGPRBlocks: 4
; NumSGPRsForWavesPerEU: 62
; NumVGPRsForWavesPerEU: 18
; Occupancy: 10
; WaveLimiterHint : 1
; COMPUTE_PGM_RSRC2:SCRATCH_EN: 0
; COMPUTE_PGM_RSRC2:USER_SGPR: 6
; COMPUTE_PGM_RSRC2:TRAP_HANDLER: 0
; COMPUTE_PGM_RSRC2:TGID_X_EN: 1
; COMPUTE_PGM_RSRC2:TGID_Y_EN: 0
; COMPUTE_PGM_RSRC2:TGID_Z_EN: 0
; COMPUTE_PGM_RSRC2:TIDIG_COMP_CNT: 0
	.section	.text._ZN2at6native12_GLOBAL__N_135_unfold_backward_elementwise_kernelILi256ELi4EZNS1_32_unfold_backward_internal_kernelIN3c108BFloat16EEEvRNS_14TensorIteratorEllllllEUliE_EEviT1_,"axG",@progbits,_ZN2at6native12_GLOBAL__N_135_unfold_backward_elementwise_kernelILi256ELi4EZNS1_32_unfold_backward_internal_kernelIN3c108BFloat16EEEvRNS_14TensorIteratorEllllllEUliE_EEviT1_,comdat
	.globl	_ZN2at6native12_GLOBAL__N_135_unfold_backward_elementwise_kernelILi256ELi4EZNS1_32_unfold_backward_internal_kernelIN3c108BFloat16EEEvRNS_14TensorIteratorEllllllEUliE_EEviT1_ ; -- Begin function _ZN2at6native12_GLOBAL__N_135_unfold_backward_elementwise_kernelILi256ELi4EZNS1_32_unfold_backward_internal_kernelIN3c108BFloat16EEEvRNS_14TensorIteratorEllllllEUliE_EEviT1_
	.p2align	8
	.type	_ZN2at6native12_GLOBAL__N_135_unfold_backward_elementwise_kernelILi256ELi4EZNS1_32_unfold_backward_internal_kernelIN3c108BFloat16EEEvRNS_14TensorIteratorEllllllEUliE_EEviT1_,@function
_ZN2at6native12_GLOBAL__N_135_unfold_backward_elementwise_kernelILi256ELi4EZNS1_32_unfold_backward_internal_kernelIN3c108BFloat16EEEvRNS_14TensorIteratorEllllllEUliE_EEviT1_: ; @_ZN2at6native12_GLOBAL__N_135_unfold_backward_elementwise_kernelILi256ELi4EZNS1_32_unfold_backward_internal_kernelIN3c108BFloat16EEEvRNS_14TensorIteratorEllllllEUliE_EEviT1_
; %bb.0:
	s_load_dword s51, s[4:5], 0x0
	s_load_dwordx8 s[24:31], s[4:5], 0x8
	s_add_u32 s33, s4, 8
	v_lshl_or_b32 v11, s6, 10, v0
	s_addc_u32 s50, s5, 0
	s_load_dwordx16 s[8:23], s[4:5], 0x190
	s_load_dwordx4 s[36:39], s[4:5], 0xcc
	s_load_dwordx2 s[6:7], s[4:5], 0xdc
	s_waitcnt lgkmcnt(0)
	v_sub_co_u32_e64 v0, s[0:1], s24, 1
	s_xor_b64 s[40:41], s[0:1], -1
	v_readfirstlane_b32 s0, v0
	s_min_u32 s31, s0, 15
	s_cmp_gt_u32 s24, 1
	v_cmp_lt_u32_e64 s[0:1], 1, v0
	s_cselect_b64 s[34:35], -1, 0
	s_add_u32 s4, s18, -1
	v_cndmask_b32_e64 v0, 0, 1, s[0:1]
	s_mov_b64 s[2:3], -1
	s_addc_u32 s5, s19, -1
	v_cmp_gt_i32_e32 vcc, s51, v11
	v_cmp_ne_u32_e64 s[0:1], 1, v0
	s_and_saveexec_b64 s[18:19], vcc
	s_cbranch_execnz .LBB11_4
; %bb.1:
	s_or_b64 exec, exec, s[18:19]
	v_cmp_gt_i32_e32 vcc, s51, v11
	s_and_saveexec_b64 s[18:19], vcc
	s_cbranch_execnz .LBB11_28
.LBB11_2:
	s_or_b64 exec, exec, s[18:19]
	v_cmp_gt_i32_e32 vcc, s51, v11
	s_and_saveexec_b64 s[18:19], vcc
	s_cbranch_execnz .LBB11_52
.LBB11_3:
	s_or_b64 exec, exec, s[18:19]
	v_cmp_gt_i32_e32 vcc, s51, v11
	s_and_saveexec_b64 s[2:3], vcc
	s_cbranch_execnz .LBB11_76
	s_branch .LBB11_99
.LBB11_4:
	s_and_b64 vcc, exec, s[0:1]
                                        ; implicit-def: $vgpr2
                                        ; implicit-def: $vgpr0
                                        ; implicit-def: $vgpr4
	s_cbranch_vccnz .LBB11_11
; %bb.5:
	v_mov_b32_e32 v2, 0
	s_andn2_b64 vcc, exec, s[40:41]
	v_mov_b32_e32 v0, 0
	v_mov_b32_e32 v4, 0
	s_cbranch_vccnz .LBB11_10
; %bb.6:
	s_add_i32 s2, s31, 1
	s_and_b32 s24, s2, 30
	s_add_u32 s2, s33, 0xffffffe8
	s_addc_u32 s3, s50, -1
	v_mov_b32_e32 v4, 0
	v_mov_b32_e32 v0, 0
	;; [unrolled: 1-line block ×4, first 2 shown]
.LBB11_7:                               ; =>This Inner Loop Header: Depth=1
	s_load_dwordx4 s[44:47], s[2:3], 0x1c
	s_load_dwordx2 s[42:43], s[2:3], 0x2c
	s_load_dwordx2 s[48:49], s[2:3], 0xec
	s_load_dwordx4 s[52:55], s[2:3], 0xdc
	s_add_u32 s2, s2, 24
	s_waitcnt lgkmcnt(0)
	v_mul_hi_u32 v3, s45, v1
	s_addc_u32 s3, s3, 0
	s_add_i32 s24, s24, -2
	s_cmp_lg_u32 s24, 0
	v_add_u32_e32 v3, v1, v3
	v_lshrrev_b32_e32 v3, s46, v3
	v_mul_lo_u32 v5, v3, s44
	v_mul_hi_u32 v6, s42, v3
	v_sub_u32_e32 v5, v1, v5
	v_add_u32_e32 v1, v3, v6
	v_lshrrev_b32_e32 v1, s43, v1
	v_mul_lo_u32 v8, v1, s47
	v_mul_lo_u32 v6, v5, s52
	;; [unrolled: 1-line block ×4, first 2 shown]
	v_sub_u32_e32 v3, v3, v8
	v_mul_lo_u32 v8, v3, s55
	v_mul_lo_u32 v9, v3, s48
	;; [unrolled: 1-line block ×3, first 2 shown]
	v_add3_u32 v2, v6, v2, v8
	v_add3_u32 v0, v7, v0, v9
	v_add3_u32 v4, v5, v4, v3
	s_cbranch_scc1 .LBB11_7
; %bb.8:
	s_bitcmp1_b32 s31, 0
	s_cselect_b64 s[42:43], -1, 0
	s_and_b64 vcc, exec, s[42:43]
	s_cbranch_vccnz .LBB11_10
; %bb.9:
	s_load_dwordx2 s[42:43], s[2:3], 0x1c
	s_load_dword s24, s[2:3], 0x24
	s_load_dwordx2 s[44:45], s[2:3], 0xdc
	s_waitcnt lgkmcnt(0)
	v_mul_hi_u32 v3, s43, v1
	v_add_u32_e32 v3, v1, v3
	v_lshrrev_b32_e32 v3, s24, v3
	v_mul_lo_u32 v3, v3, s42
	s_load_dword s24, s[2:3], 0xe4
	v_sub_u32_e32 v5, v1, v3
	v_mad_u64_u32 v[2:3], s[2:3], v5, s44, v[2:3]
	v_mad_u64_u32 v[0:1], s[2:3], v5, s45, v[0:1]
	s_waitcnt lgkmcnt(0)
	v_mad_u64_u32 v[4:5], s[2:3], v5, s24, v[4:5]
.LBB11_10:
	s_mov_b64 s[2:3], 0
.LBB11_11:
	s_andn2_b64 vcc, exec, s[2:3]
	s_cbranch_vccnz .LBB11_14
; %bb.12:
	v_mul_hi_u32 v0, s26, v11
	s_andn2_b64 vcc, exec, s[34:35]
	v_add_u32_e32 v0, v11, v0
	v_lshrrev_b32_e32 v1, s27, v0
	v_mul_lo_u32 v0, v1, s25
	v_sub_u32_e32 v3, v11, v0
	v_mul_lo_u32 v2, v3, s36
	v_mul_lo_u32 v0, v3, s37
	;; [unrolled: 1-line block ×3, first 2 shown]
	s_cbranch_vccnz .LBB11_14
; %bb.13:
	v_mul_hi_u32 v3, s29, v1
	v_add_u32_e32 v3, v1, v3
	v_lshrrev_b32_e32 v3, s30, v3
	v_mul_lo_u32 v3, v3, s28
	v_sub_u32_e32 v5, v1, v3
	v_mad_u64_u32 v[2:3], s[2:3], v5, s39, v[2:3]
	v_mad_u64_u32 v[0:1], s[2:3], v5, s6, v[0:1]
	;; [unrolled: 1-line block ×3, first 2 shown]
.LBB11_14:
	global_load_dwordx2 v[3:4], v4, s[12:13]
	v_mov_b32_e32 v5, 0
	v_mov_b32_e32 v6, 0
	s_waitcnt vmcnt(0)
	v_cmp_lt_i64_e32 vcc, s[14:15], v[3:4]
	s_and_saveexec_b64 s[42:43], vcc
	s_cbranch_execz .LBB11_20
; %bb.15:
	v_mov_b32_e32 v5, s15
	v_subrev_co_u32_e32 v1, vcc, s14, v3
	v_subb_co_u32_e32 v7, vcc, v4, v5, vcc
	v_or_b32_e32 v6, s17, v7
	v_mov_b32_e32 v5, 0
	v_cmp_ne_u64_e32 vcc, 0, v[5:6]
                                        ; implicit-def: $vgpr5_vgpr6
	s_and_saveexec_b64 s[2:3], vcc
	s_xor_b64 s[44:45], exec, s[2:3]
	s_cbranch_execz .LBB11_17
; %bb.16:
	s_ashr_i32 s46, s17, 31
	s_add_u32 s2, s16, s46
	s_mov_b32 s47, s46
	s_addc_u32 s3, s17, s46
	s_xor_b64 s[48:49], s[2:3], s[46:47]
	v_cvt_f32_u32_e32 v5, s48
	v_cvt_f32_u32_e32 v6, s49
	s_sub_u32 s24, 0, s48
	s_subb_u32 s47, 0, s49
	v_ashrrev_i32_e32 v9, 31, v7
	v_madmk_f32 v5, v6, 0x4f800000, v5
	v_rcp_f32_e32 v5, v5
	v_add_co_u32_e32 v1, vcc, v1, v9
	v_xor_b32_e32 v1, v1, v9
	v_mul_f32_e32 v5, 0x5f7ffffc, v5
	v_mul_f32_e32 v6, 0x2f800000, v5
	v_trunc_f32_e32 v6, v6
	v_madmk_f32 v5, v6, 0xcf800000, v5
	v_cvt_u32_f32_e32 v6, v6
	v_cvt_u32_f32_e32 v5, v5
	v_addc_co_u32_e32 v7, vcc, v7, v9, vcc
	v_readfirstlane_b32 s52, v6
	v_readfirstlane_b32 s2, v5
	s_mul_i32 s3, s24, s52
	s_mul_hi_u32 s54, s24, s2
	s_mul_i32 s53, s47, s2
	s_add_i32 s3, s54, s3
	s_add_i32 s3, s3, s53
	s_mul_i32 s55, s24, s2
	s_mul_i32 s54, s2, s3
	s_mul_hi_u32 s56, s2, s55
	s_mul_hi_u32 s53, s2, s3
	s_add_u32 s54, s56, s54
	s_addc_u32 s53, 0, s53
	s_mul_hi_u32 s57, s52, s55
	s_mul_i32 s55, s52, s55
	s_add_u32 s54, s54, s55
	s_mul_hi_u32 s56, s52, s3
	s_addc_u32 s53, s53, s57
	s_addc_u32 s54, s56, 0
	s_mul_i32 s3, s52, s3
	s_add_u32 s3, s53, s3
	s_addc_u32 s53, 0, s54
	s_add_u32 s54, s2, s3
	s_cselect_b64 s[2:3], -1, 0
	s_cmp_lg_u64 s[2:3], 0
	s_addc_u32 s52, s52, s53
	s_mul_i32 s2, s24, s52
	s_mul_hi_u32 s3, s24, s54
	s_add_i32 s2, s3, s2
	s_mul_i32 s47, s47, s54
	s_add_i32 s2, s2, s47
	s_mul_i32 s24, s24, s54
	s_mul_hi_u32 s47, s52, s24
	s_mul_i32 s53, s52, s24
	s_mul_i32 s56, s54, s2
	s_mul_hi_u32 s24, s54, s24
	s_mul_hi_u32 s55, s54, s2
	s_add_u32 s24, s24, s56
	s_addc_u32 s55, 0, s55
	s_add_u32 s24, s24, s53
	s_mul_hi_u32 s3, s52, s2
	s_addc_u32 s24, s55, s47
	s_addc_u32 s3, s3, 0
	s_mul_i32 s2, s52, s2
	s_add_u32 s2, s24, s2
	s_addc_u32 s24, 0, s3
	s_add_u32 s47, s54, s2
	s_cselect_b64 s[2:3], -1, 0
	s_cmp_lg_u64 s[2:3], 0
	s_addc_u32 s24, s52, s24
	v_mad_u64_u32 v[5:6], s[2:3], v1, s24, 0
	v_mul_hi_u32 v8, v1, s47
	v_xor_b32_e32 v10, v7, v9
	v_add_co_u32_e32 v12, vcc, v8, v5
	v_addc_co_u32_e32 v13, vcc, 0, v6, vcc
	v_mad_u64_u32 v[5:6], s[2:3], v10, s47, 0
	v_mad_u64_u32 v[7:8], s[2:3], v10, s24, 0
	v_add_co_u32_e32 v5, vcc, v12, v5
	v_addc_co_u32_e32 v5, vcc, v13, v6, vcc
	v_addc_co_u32_e32 v6, vcc, 0, v8, vcc
	v_add_co_u32_e32 v7, vcc, v5, v7
	v_addc_co_u32_e32 v8, vcc, 0, v6, vcc
	v_mul_lo_u32 v12, s49, v7
	v_mul_lo_u32 v13, s48, v8
	v_mad_u64_u32 v[5:6], s[2:3], s48, v7, 0
	v_add3_u32 v6, v6, v13, v12
	v_sub_u32_e32 v12, v10, v6
	v_mov_b32_e32 v13, s49
	v_sub_co_u32_e32 v1, vcc, v1, v5
	v_subb_co_u32_e64 v5, s[2:3], v12, v13, vcc
	v_subrev_co_u32_e64 v12, s[2:3], s48, v1
	v_subbrev_co_u32_e64 v5, s[2:3], 0, v5, s[2:3]
	v_cmp_le_u32_e64 s[2:3], s49, v5
	v_cndmask_b32_e64 v13, 0, -1, s[2:3]
	v_cmp_le_u32_e64 s[2:3], s48, v12
	v_cndmask_b32_e64 v12, 0, -1, s[2:3]
	v_cmp_eq_u32_e64 s[2:3], s49, v5
	v_cndmask_b32_e64 v5, v13, v12, s[2:3]
	v_add_co_u32_e64 v12, s[2:3], 2, v7
	v_subb_co_u32_e32 v6, vcc, v10, v6, vcc
	v_addc_co_u32_e64 v13, s[2:3], 0, v8, s[2:3]
	v_cmp_le_u32_e32 vcc, s49, v6
	v_add_co_u32_e64 v14, s[2:3], 1, v7
	v_cndmask_b32_e64 v10, 0, -1, vcc
	v_cmp_le_u32_e32 vcc, s48, v1
	v_addc_co_u32_e64 v15, s[2:3], 0, v8, s[2:3]
	v_cndmask_b32_e64 v1, 0, -1, vcc
	v_cmp_eq_u32_e32 vcc, s49, v6
	v_cmp_ne_u32_e64 s[2:3], 0, v5
	v_cndmask_b32_e32 v1, v10, v1, vcc
	v_cndmask_b32_e64 v5, v15, v13, s[2:3]
	v_cmp_ne_u32_e32 vcc, 0, v1
	v_cndmask_b32_e32 v1, v8, v5, vcc
	v_cndmask_b32_e64 v5, v14, v12, s[2:3]
	v_cndmask_b32_e32 v5, v7, v5, vcc
	v_xor_b32_e32 v6, s46, v9
	v_xor_b32_e32 v5, v5, v6
	;; [unrolled: 1-line block ×3, first 2 shown]
	v_sub_co_u32_e32 v5, vcc, v5, v6
	v_subb_co_u32_e32 v6, vcc, v1, v6, vcc
                                        ; implicit-def: $vgpr1
.LBB11_17:
	s_andn2_saveexec_b64 s[2:3], s[44:45]
	s_cbranch_execz .LBB11_19
; %bb.18:
	v_cvt_f32_u32_e32 v5, s16
	s_sub_i32 s24, 0, s16
	v_rcp_iflag_f32_e32 v5, v5
	v_mul_f32_e32 v5, 0x4f7ffffe, v5
	v_cvt_u32_f32_e32 v5, v5
	v_mul_lo_u32 v6, s24, v5
	v_mul_hi_u32 v6, v5, v6
	v_add_u32_e32 v5, v5, v6
	v_mul_hi_u32 v5, v1, v5
	v_mul_lo_u32 v6, v5, s16
	v_add_u32_e32 v7, 1, v5
	v_sub_u32_e32 v1, v1, v6
	v_subrev_u32_e32 v6, s16, v1
	v_cmp_le_u32_e32 vcc, s16, v1
	v_cndmask_b32_e32 v1, v1, v6, vcc
	v_cndmask_b32_e32 v5, v5, v7, vcc
	v_add_u32_e32 v6, 1, v5
	v_cmp_le_u32_e32 vcc, s16, v1
	v_cndmask_b32_e32 v5, v5, v6, vcc
	v_mov_b32_e32 v6, 0
.LBB11_19:
	s_or_b64 exec, exec, s[2:3]
.LBB11_20:
	s_or_b64 exec, exec, s[42:43]
	v_or_b32_e32 v8, s17, v4
	v_mov_b32_e32 v7, 0
	v_cmp_ne_u64_e32 vcc, 0, v[7:8]
                                        ; implicit-def: $vgpr7_vgpr8
	s_and_saveexec_b64 s[2:3], vcc
	s_xor_b64 s[42:43], exec, s[2:3]
	s_cbranch_execz .LBB11_22
; %bb.21:
	s_ashr_i32 s44, s17, 31
	s_add_u32 s2, s16, s44
	s_mov_b32 s45, s44
	s_addc_u32 s3, s17, s44
	s_xor_b64 s[46:47], s[2:3], s[44:45]
	v_cvt_f32_u32_e32 v1, s46
	v_cvt_f32_u32_e32 v7, s47
	s_sub_u32 s24, 0, s46
	s_subb_u32 s45, 0, s47
	v_madmk_f32 v1, v7, 0x4f800000, v1
	v_rcp_f32_e32 v1, v1
	v_mul_f32_e32 v1, 0x5f7ffffc, v1
	v_mul_f32_e32 v7, 0x2f800000, v1
	v_trunc_f32_e32 v7, v7
	v_madmk_f32 v1, v7, 0xcf800000, v1
	v_cvt_u32_f32_e32 v7, v7
	v_cvt_u32_f32_e32 v1, v1
	v_readfirstlane_b32 s48, v7
	v_readfirstlane_b32 s2, v1
	s_mul_i32 s3, s24, s48
	s_mul_hi_u32 s52, s24, s2
	s_mul_i32 s49, s45, s2
	s_add_i32 s3, s52, s3
	s_add_i32 s3, s3, s49
	s_mul_i32 s53, s24, s2
	s_mul_i32 s52, s2, s3
	s_mul_hi_u32 s54, s2, s53
	s_mul_hi_u32 s49, s2, s3
	s_add_u32 s52, s54, s52
	s_addc_u32 s49, 0, s49
	s_mul_hi_u32 s55, s48, s53
	s_mul_i32 s53, s48, s53
	s_add_u32 s52, s52, s53
	s_mul_hi_u32 s54, s48, s3
	s_addc_u32 s49, s49, s55
	s_addc_u32 s52, s54, 0
	s_mul_i32 s3, s48, s3
	s_add_u32 s3, s49, s3
	s_addc_u32 s49, 0, s52
	s_add_u32 s52, s2, s3
	s_cselect_b64 s[2:3], -1, 0
	s_cmp_lg_u64 s[2:3], 0
	s_addc_u32 s48, s48, s49
	s_mul_i32 s2, s24, s48
	s_mul_hi_u32 s3, s24, s52
	s_add_i32 s2, s3, s2
	s_mul_i32 s45, s45, s52
	s_add_i32 s2, s2, s45
	s_mul_i32 s24, s24, s52
	s_mul_hi_u32 s45, s48, s24
	s_mul_i32 s49, s48, s24
	s_mul_i32 s54, s52, s2
	s_mul_hi_u32 s24, s52, s24
	s_mul_hi_u32 s53, s52, s2
	s_add_u32 s24, s24, s54
	s_addc_u32 s53, 0, s53
	s_add_u32 s24, s24, s49
	s_mul_hi_u32 s3, s48, s2
	s_addc_u32 s24, s53, s45
	s_addc_u32 s3, s3, 0
	s_mul_i32 s2, s48, s2
	s_add_u32 s2, s24, s2
	s_addc_u32 s24, 0, s3
	s_add_u32 s45, s52, s2
	s_cselect_b64 s[2:3], -1, 0
	v_ashrrev_i32_e32 v1, 31, v4
	s_cmp_lg_u64 s[2:3], 0
	v_add_co_u32_e32 v7, vcc, v3, v1
	s_addc_u32 s24, s48, s24
	v_xor_b32_e32 v12, v7, v1
	v_mad_u64_u32 v[7:8], s[2:3], v12, s24, 0
	v_mul_hi_u32 v10, v12, s45
	v_addc_co_u32_e32 v9, vcc, v4, v1, vcc
	v_xor_b32_e32 v13, v9, v1
	v_add_co_u32_e32 v14, vcc, v10, v7
	v_addc_co_u32_e32 v15, vcc, 0, v8, vcc
	v_mad_u64_u32 v[7:8], s[2:3], v13, s45, 0
	v_mad_u64_u32 v[9:10], s[2:3], v13, s24, 0
	v_add_co_u32_e32 v7, vcc, v14, v7
	v_addc_co_u32_e32 v7, vcc, v15, v8, vcc
	v_addc_co_u32_e32 v8, vcc, 0, v10, vcc
	v_add_co_u32_e32 v9, vcc, v7, v9
	v_addc_co_u32_e32 v10, vcc, 0, v8, vcc
	v_mul_lo_u32 v14, s47, v9
	v_mul_lo_u32 v15, s46, v10
	v_mad_u64_u32 v[7:8], s[2:3], s46, v9, 0
	v_xor_b32_e32 v1, s44, v1
	v_add3_u32 v8, v8, v15, v14
	v_sub_u32_e32 v14, v13, v8
	v_mov_b32_e32 v15, s47
	v_sub_co_u32_e32 v7, vcc, v12, v7
	v_subb_co_u32_e64 v12, s[2:3], v14, v15, vcc
	v_subrev_co_u32_e64 v14, s[2:3], s46, v7
	v_subbrev_co_u32_e64 v12, s[2:3], 0, v12, s[2:3]
	v_cmp_le_u32_e64 s[2:3], s47, v12
	v_cndmask_b32_e64 v15, 0, -1, s[2:3]
	v_cmp_le_u32_e64 s[2:3], s46, v14
	v_cndmask_b32_e64 v14, 0, -1, s[2:3]
	v_cmp_eq_u32_e64 s[2:3], s47, v12
	v_cndmask_b32_e64 v12, v15, v14, s[2:3]
	v_add_co_u32_e64 v14, s[2:3], 2, v9
	v_subb_co_u32_e32 v8, vcc, v13, v8, vcc
	v_addc_co_u32_e64 v15, s[2:3], 0, v10, s[2:3]
	v_cmp_le_u32_e32 vcc, s47, v8
	v_add_co_u32_e64 v16, s[2:3], 1, v9
	v_cndmask_b32_e64 v13, 0, -1, vcc
	v_cmp_le_u32_e32 vcc, s46, v7
	v_addc_co_u32_e64 v17, s[2:3], 0, v10, s[2:3]
	v_cndmask_b32_e64 v7, 0, -1, vcc
	v_cmp_eq_u32_e32 vcc, s47, v8
	v_cmp_ne_u32_e64 s[2:3], 0, v12
	v_cndmask_b32_e32 v7, v13, v7, vcc
	v_cndmask_b32_e64 v12, v17, v15, s[2:3]
	v_cmp_ne_u32_e32 vcc, 0, v7
	v_cndmask_b32_e64 v8, v16, v14, s[2:3]
	v_cndmask_b32_e32 v7, v10, v12, vcc
	v_cndmask_b32_e32 v8, v9, v8, vcc
	v_xor_b32_e32 v9, v7, v1
	v_xor_b32_e32 v7, v8, v1
	v_sub_co_u32_e32 v7, vcc, v7, v1
	v_subb_co_u32_e32 v8, vcc, v9, v1, vcc
.LBB11_22:
	s_andn2_saveexec_b64 s[2:3], s[42:43]
	s_cbranch_execz .LBB11_24
; %bb.23:
	v_cvt_f32_u32_e32 v1, s16
	s_sub_i32 s24, 0, s16
	v_rcp_iflag_f32_e32 v1, v1
	v_mul_f32_e32 v1, 0x4f7ffffe, v1
	v_cvt_u32_f32_e32 v1, v1
	v_mul_lo_u32 v7, s24, v1
	v_mul_hi_u32 v7, v1, v7
	v_add_u32_e32 v1, v1, v7
	v_mul_hi_u32 v1, v3, v1
	v_mul_lo_u32 v7, v1, s16
	v_add_u32_e32 v8, 1, v1
	v_sub_u32_e32 v7, v3, v7
	v_subrev_u32_e32 v9, s16, v7
	v_cmp_le_u32_e32 vcc, s16, v7
	v_cndmask_b32_e32 v7, v7, v9, vcc
	v_cndmask_b32_e32 v1, v1, v8, vcc
	v_add_u32_e32 v8, 1, v1
	v_cmp_le_u32_e32 vcc, s16, v7
	v_cndmask_b32_e32 v7, v1, v8, vcc
	v_mov_b32_e32 v8, 0
.LBB11_24:
	s_or_b64 exec, exec, s[2:3]
	v_mul_lo_u32 v1, v6, s16
	v_mul_lo_u32 v12, v5, s17
	v_mad_u64_u32 v[9:10], s[2:3], v5, s16, 0
	v_add3_u32 v10, v10, v12, v1
	v_cmp_gt_i64_e32 vcc, v[9:10], v[3:4]
	v_mov_b32_e32 v1, s15
	v_add_co_u32_e64 v9, s[2:3], s14, v9
	v_addc_co_u32_e64 v10, s[2:3], v10, v1, s[2:3]
	v_cmp_ge_i64_e64 s[2:3], v[3:4], v[9:10]
	s_or_b64 s[2:3], vcc, s[2:3]
	v_cndmask_b32_e64 v1, 0, 1, s[2:3]
	v_add_co_u32_e32 v9, vcc, v5, v1
	v_addc_co_u32_e32 v10, vcc, 0, v6, vcc
	v_cmp_gt_i64_e32 vcc, s[4:5], v[7:8]
	v_mov_b32_e32 v1, s5
	v_cndmask_b32_e32 v6, v1, v8, vcc
	v_mov_b32_e32 v1, s4
	v_cndmask_b32_e32 v5, v1, v7, vcc
	v_cmp_le_i64_e32 vcc, v[9:10], v[5:6]
	s_and_saveexec_b64 s[42:43], vcc
	s_cbranch_execz .LBB11_27
; %bb.25:
	global_load_ushort v12, v2, s[8:9]
	v_mul_lo_u32 v14, s17, v9
	v_mul_lo_u32 v15, s16, v10
	v_mad_u64_u32 v[7:8], s[2:3], s16, v9, 0
	v_mov_b32_e32 v13, s9
	v_add_co_u32_e32 v1, vcc, s8, v2
	v_addc_co_u32_e32 v2, vcc, 0, v13, vcc
	v_add3_u32 v8, v8, v15, v14
	v_sub_co_u32_e32 v3, vcc, v3, v7
	v_subb_co_u32_e32 v4, vcc, v4, v8, vcc
	v_mul_lo_u32 v15, s23, v3
	v_mul_lo_u32 v16, s22, v4
	v_mad_u64_u32 v[7:8], s[2:3], s22, v3, 0
	v_mul_lo_u32 v17, s21, v9
	v_mul_lo_u32 v18, s20, v10
	v_mad_u64_u32 v[13:14], s[2:3], s20, v9, 0
	v_add_co_u32_e32 v3, vcc, -1, v9
	v_add3_u32 v8, v8, v16, v15
	v_add3_u32 v14, v14, v18, v17
	v_addc_co_u32_e32 v4, vcc, -1, v10, vcc
	v_lshlrev_b64 v[7:8], 1, v[7:8]
	v_lshlrev_b64 v[9:10], 1, v[13:14]
	s_mul_i32 s24, s16, s23
	v_add_co_u32_e32 v7, vcc, v7, v9
	s_mul_hi_u32 s44, s16, s22
	v_addc_co_u32_e32 v8, vcc, v8, v10, vcc
	s_add_i32 s24, s44, s24
	s_mul_i32 s44, s17, s22
	v_add_co_u32_e32 v0, vcc, v7, v0
	s_add_i32 s45, s24, s44
	s_mul_i32 s44, s16, s22
	v_addc_co_u32_e32 v8, vcc, 0, v8, vcc
	s_lshl_b64 s[2:3], s[20:21], 1
	s_lshl_b64 s[44:45], s[44:45], 1
	v_mov_b32_e32 v9, s11
	v_add_co_u32_e32 v7, vcc, s10, v0
	s_sub_u32 s24, s2, s44
	v_addc_co_u32_e32 v8, vcc, v9, v8, vcc
	s_subb_u32 s46, s3, s45
	s_mov_b64 s[44:45], 0
	s_movk_i32 s47, 0x7fff
	v_mov_b32_e32 v0, 0x7fc0
.LBB11_26:                              ; =>This Inner Loop Header: Depth=1
	global_load_ushort v9, v[7:8], off
	s_waitcnt vmcnt(1)
	v_lshlrev_b32_e32 v10, 16, v12
	v_add_co_u32_e32 v3, vcc, 1, v3
	v_addc_co_u32_e32 v4, vcc, 0, v4, vcc
	v_mov_b32_e32 v12, s46
	v_add_co_u32_e32 v7, vcc, s24, v7
	v_cmp_ge_i64_e64 s[2:3], v[3:4], v[5:6]
	v_addc_co_u32_e32 v8, vcc, v8, v12, vcc
	s_or_b64 s[44:45], s[2:3], s[44:45]
	s_waitcnt vmcnt(0)
	v_lshlrev_b32_e32 v9, 16, v9
	v_add_f32_e32 v9, v10, v9
	v_bfe_u32 v10, v9, 16, 1
	v_add3_u32 v10, v9, v10, s47
	v_lshrrev_b32_e32 v10, 16, v10
	v_cmp_o_f32_e32 vcc, v9, v9
	v_cndmask_b32_e32 v12, v0, v10, vcc
	global_store_short v[1:2], v12, off
	s_andn2_b64 exec, exec, s[44:45]
	s_cbranch_execnz .LBB11_26
.LBB11_27:
	s_or_b64 exec, exec, s[42:43]
	v_add_u32_e32 v11, 0x100, v11
	s_or_b64 exec, exec, s[18:19]
	v_cmp_gt_i32_e32 vcc, s51, v11
	s_and_saveexec_b64 s[18:19], vcc
	s_cbranch_execz .LBB11_2
.LBB11_28:
	s_and_b64 vcc, exec, s[0:1]
	s_cbranch_vccnz .LBB11_35
; %bb.29:
	v_mov_b32_e32 v2, 0
	s_andn2_b64 vcc, exec, s[40:41]
	v_mov_b32_e32 v0, 0
	v_mov_b32_e32 v4, 0
	s_cbranch_vccnz .LBB11_34
; %bb.30:
	s_add_i32 s2, s31, 1
	s_and_b32 s24, s2, 30
	s_add_u32 s2, s33, 0xffffffe8
	s_addc_u32 s3, s50, -1
	v_mov_b32_e32 v4, 0
	v_mov_b32_e32 v0, 0
	;; [unrolled: 1-line block ×4, first 2 shown]
.LBB11_31:                              ; =>This Inner Loop Header: Depth=1
	s_load_dwordx4 s[44:47], s[2:3], 0x1c
	s_load_dwordx2 s[42:43], s[2:3], 0x2c
	s_load_dwordx2 s[48:49], s[2:3], 0xec
	s_load_dwordx4 s[52:55], s[2:3], 0xdc
	s_add_u32 s2, s2, 24
	s_waitcnt lgkmcnt(0)
	v_mul_hi_u32 v3, s45, v1
	s_addc_u32 s3, s3, 0
	s_add_i32 s24, s24, -2
	s_cmp_eq_u32 s24, 0
	v_add_u32_e32 v3, v1, v3
	v_lshrrev_b32_e32 v3, s46, v3
	v_mul_lo_u32 v5, v3, s44
	v_mul_hi_u32 v6, s42, v3
	v_sub_u32_e32 v5, v1, v5
	v_add_u32_e32 v1, v3, v6
	v_lshrrev_b32_e32 v1, s43, v1
	v_mul_lo_u32 v8, v1, s47
	v_mul_lo_u32 v6, v5, s52
	;; [unrolled: 1-line block ×4, first 2 shown]
	v_sub_u32_e32 v3, v3, v8
	v_mul_lo_u32 v8, v3, s55
	v_mul_lo_u32 v9, v3, s48
	;; [unrolled: 1-line block ×3, first 2 shown]
	v_add3_u32 v2, v6, v2, v8
	v_add3_u32 v0, v7, v0, v9
	;; [unrolled: 1-line block ×3, first 2 shown]
	s_cbranch_scc0 .LBB11_31
; %bb.32:
	s_bitcmp1_b32 s31, 0
	s_cselect_b64 s[42:43], -1, 0
	s_and_b64 vcc, exec, s[42:43]
	s_cbranch_vccnz .LBB11_34
; %bb.33:
	s_load_dwordx2 s[42:43], s[2:3], 0x1c
	s_load_dword s24, s[2:3], 0x24
	s_load_dwordx2 s[44:45], s[2:3], 0xdc
	s_waitcnt lgkmcnt(0)
	v_mul_hi_u32 v3, s43, v1
	v_add_u32_e32 v3, v1, v3
	v_lshrrev_b32_e32 v3, s24, v3
	v_mul_lo_u32 v3, v3, s42
	s_load_dword s24, s[2:3], 0xe4
	v_sub_u32_e32 v5, v1, v3
	v_mad_u64_u32 v[2:3], s[2:3], v5, s44, v[2:3]
	v_mad_u64_u32 v[0:1], s[2:3], v5, s45, v[0:1]
	s_waitcnt lgkmcnt(0)
	v_mad_u64_u32 v[4:5], s[2:3], v5, s24, v[4:5]
.LBB11_34:
	s_cbranch_execz .LBB11_36
	s_branch .LBB11_38
.LBB11_35:
                                        ; implicit-def: $vgpr2
                                        ; implicit-def: $vgpr0
                                        ; implicit-def: $vgpr4
.LBB11_36:
	v_mul_hi_u32 v0, s26, v11
	s_andn2_b64 vcc, exec, s[34:35]
	v_add_u32_e32 v0, v11, v0
	v_lshrrev_b32_e32 v1, s27, v0
	v_mul_lo_u32 v0, v1, s25
	v_sub_u32_e32 v3, v11, v0
	v_mul_lo_u32 v2, v3, s36
	v_mul_lo_u32 v0, v3, s37
	;; [unrolled: 1-line block ×3, first 2 shown]
	s_cbranch_vccnz .LBB11_38
; %bb.37:
	v_mul_hi_u32 v3, s29, v1
	v_add_u32_e32 v3, v1, v3
	v_lshrrev_b32_e32 v3, s30, v3
	v_mul_lo_u32 v3, v3, s28
	v_sub_u32_e32 v5, v1, v3
	v_mad_u64_u32 v[2:3], s[2:3], v5, s39, v[2:3]
	v_mad_u64_u32 v[0:1], s[2:3], v5, s6, v[0:1]
	;; [unrolled: 1-line block ×3, first 2 shown]
.LBB11_38:
	global_load_dwordx2 v[3:4], v4, s[12:13]
	v_mov_b32_e32 v5, 0
	v_mov_b32_e32 v6, 0
	s_waitcnt vmcnt(0)
	v_cmp_lt_i64_e32 vcc, s[14:15], v[3:4]
	s_and_saveexec_b64 s[42:43], vcc
	s_cbranch_execz .LBB11_44
; %bb.39:
	v_mov_b32_e32 v5, s15
	v_subrev_co_u32_e32 v1, vcc, s14, v3
	v_subb_co_u32_e32 v7, vcc, v4, v5, vcc
	v_or_b32_e32 v6, s17, v7
	v_mov_b32_e32 v5, 0
	v_cmp_ne_u64_e32 vcc, 0, v[5:6]
                                        ; implicit-def: $vgpr5_vgpr6
	s_and_saveexec_b64 s[2:3], vcc
	s_xor_b64 s[44:45], exec, s[2:3]
	s_cbranch_execz .LBB11_41
; %bb.40:
	s_ashr_i32 s46, s17, 31
	s_add_u32 s2, s16, s46
	s_mov_b32 s47, s46
	s_addc_u32 s3, s17, s46
	s_xor_b64 s[48:49], s[2:3], s[46:47]
	v_cvt_f32_u32_e32 v5, s48
	v_cvt_f32_u32_e32 v6, s49
	s_sub_u32 s24, 0, s48
	s_subb_u32 s47, 0, s49
	v_ashrrev_i32_e32 v9, 31, v7
	v_madmk_f32 v5, v6, 0x4f800000, v5
	v_rcp_f32_e32 v5, v5
	v_add_co_u32_e32 v1, vcc, v1, v9
	v_xor_b32_e32 v1, v1, v9
	v_mul_f32_e32 v5, 0x5f7ffffc, v5
	v_mul_f32_e32 v6, 0x2f800000, v5
	v_trunc_f32_e32 v6, v6
	v_madmk_f32 v5, v6, 0xcf800000, v5
	v_cvt_u32_f32_e32 v6, v6
	v_cvt_u32_f32_e32 v5, v5
	v_addc_co_u32_e32 v7, vcc, v7, v9, vcc
	v_readfirstlane_b32 s52, v6
	v_readfirstlane_b32 s2, v5
	s_mul_i32 s3, s24, s52
	s_mul_hi_u32 s54, s24, s2
	s_mul_i32 s53, s47, s2
	s_add_i32 s3, s54, s3
	s_add_i32 s3, s3, s53
	s_mul_i32 s55, s24, s2
	s_mul_i32 s54, s2, s3
	s_mul_hi_u32 s56, s2, s55
	s_mul_hi_u32 s53, s2, s3
	s_add_u32 s54, s56, s54
	s_addc_u32 s53, 0, s53
	s_mul_hi_u32 s57, s52, s55
	s_mul_i32 s55, s52, s55
	s_add_u32 s54, s54, s55
	s_mul_hi_u32 s56, s52, s3
	s_addc_u32 s53, s53, s57
	s_addc_u32 s54, s56, 0
	s_mul_i32 s3, s52, s3
	s_add_u32 s3, s53, s3
	s_addc_u32 s53, 0, s54
	s_add_u32 s54, s2, s3
	s_cselect_b64 s[2:3], -1, 0
	s_cmp_lg_u64 s[2:3], 0
	s_addc_u32 s52, s52, s53
	s_mul_i32 s2, s24, s52
	s_mul_hi_u32 s3, s24, s54
	s_add_i32 s2, s3, s2
	s_mul_i32 s47, s47, s54
	s_add_i32 s2, s2, s47
	s_mul_i32 s24, s24, s54
	s_mul_hi_u32 s47, s52, s24
	s_mul_i32 s53, s52, s24
	s_mul_i32 s56, s54, s2
	s_mul_hi_u32 s24, s54, s24
	s_mul_hi_u32 s55, s54, s2
	s_add_u32 s24, s24, s56
	s_addc_u32 s55, 0, s55
	s_add_u32 s24, s24, s53
	s_mul_hi_u32 s3, s52, s2
	s_addc_u32 s24, s55, s47
	s_addc_u32 s3, s3, 0
	s_mul_i32 s2, s52, s2
	s_add_u32 s2, s24, s2
	s_addc_u32 s24, 0, s3
	s_add_u32 s47, s54, s2
	s_cselect_b64 s[2:3], -1, 0
	s_cmp_lg_u64 s[2:3], 0
	s_addc_u32 s24, s52, s24
	v_mad_u64_u32 v[5:6], s[2:3], v1, s24, 0
	v_mul_hi_u32 v8, v1, s47
	v_xor_b32_e32 v10, v7, v9
	v_add_co_u32_e32 v12, vcc, v8, v5
	v_addc_co_u32_e32 v13, vcc, 0, v6, vcc
	v_mad_u64_u32 v[5:6], s[2:3], v10, s47, 0
	v_mad_u64_u32 v[7:8], s[2:3], v10, s24, 0
	v_add_co_u32_e32 v5, vcc, v12, v5
	v_addc_co_u32_e32 v5, vcc, v13, v6, vcc
	v_addc_co_u32_e32 v6, vcc, 0, v8, vcc
	v_add_co_u32_e32 v7, vcc, v5, v7
	v_addc_co_u32_e32 v8, vcc, 0, v6, vcc
	v_mul_lo_u32 v12, s49, v7
	v_mul_lo_u32 v13, s48, v8
	v_mad_u64_u32 v[5:6], s[2:3], s48, v7, 0
	v_add3_u32 v6, v6, v13, v12
	v_sub_u32_e32 v12, v10, v6
	v_mov_b32_e32 v13, s49
	v_sub_co_u32_e32 v1, vcc, v1, v5
	v_subb_co_u32_e64 v5, s[2:3], v12, v13, vcc
	v_subrev_co_u32_e64 v12, s[2:3], s48, v1
	v_subbrev_co_u32_e64 v5, s[2:3], 0, v5, s[2:3]
	v_cmp_le_u32_e64 s[2:3], s49, v5
	v_cndmask_b32_e64 v13, 0, -1, s[2:3]
	v_cmp_le_u32_e64 s[2:3], s48, v12
	v_cndmask_b32_e64 v12, 0, -1, s[2:3]
	v_cmp_eq_u32_e64 s[2:3], s49, v5
	v_cndmask_b32_e64 v5, v13, v12, s[2:3]
	v_add_co_u32_e64 v12, s[2:3], 2, v7
	v_subb_co_u32_e32 v6, vcc, v10, v6, vcc
	v_addc_co_u32_e64 v13, s[2:3], 0, v8, s[2:3]
	v_cmp_le_u32_e32 vcc, s49, v6
	v_add_co_u32_e64 v14, s[2:3], 1, v7
	v_cndmask_b32_e64 v10, 0, -1, vcc
	v_cmp_le_u32_e32 vcc, s48, v1
	v_addc_co_u32_e64 v15, s[2:3], 0, v8, s[2:3]
	v_cndmask_b32_e64 v1, 0, -1, vcc
	v_cmp_eq_u32_e32 vcc, s49, v6
	v_cmp_ne_u32_e64 s[2:3], 0, v5
	v_cndmask_b32_e32 v1, v10, v1, vcc
	v_cndmask_b32_e64 v5, v15, v13, s[2:3]
	v_cmp_ne_u32_e32 vcc, 0, v1
	v_cndmask_b32_e32 v1, v8, v5, vcc
	v_cndmask_b32_e64 v5, v14, v12, s[2:3]
	v_cndmask_b32_e32 v5, v7, v5, vcc
	v_xor_b32_e32 v6, s46, v9
	v_xor_b32_e32 v5, v5, v6
	;; [unrolled: 1-line block ×3, first 2 shown]
	v_sub_co_u32_e32 v5, vcc, v5, v6
	v_subb_co_u32_e32 v6, vcc, v1, v6, vcc
                                        ; implicit-def: $vgpr1
.LBB11_41:
	s_andn2_saveexec_b64 s[2:3], s[44:45]
	s_cbranch_execz .LBB11_43
; %bb.42:
	v_cvt_f32_u32_e32 v5, s16
	s_sub_i32 s24, 0, s16
	v_rcp_iflag_f32_e32 v5, v5
	v_mul_f32_e32 v5, 0x4f7ffffe, v5
	v_cvt_u32_f32_e32 v5, v5
	v_mul_lo_u32 v6, s24, v5
	v_mul_hi_u32 v6, v5, v6
	v_add_u32_e32 v5, v5, v6
	v_mul_hi_u32 v5, v1, v5
	v_mul_lo_u32 v6, v5, s16
	v_add_u32_e32 v7, 1, v5
	v_sub_u32_e32 v1, v1, v6
	v_subrev_u32_e32 v6, s16, v1
	v_cmp_le_u32_e32 vcc, s16, v1
	v_cndmask_b32_e32 v1, v1, v6, vcc
	v_cndmask_b32_e32 v5, v5, v7, vcc
	v_add_u32_e32 v6, 1, v5
	v_cmp_le_u32_e32 vcc, s16, v1
	v_cndmask_b32_e32 v5, v5, v6, vcc
	v_mov_b32_e32 v6, 0
.LBB11_43:
	s_or_b64 exec, exec, s[2:3]
.LBB11_44:
	s_or_b64 exec, exec, s[42:43]
	v_or_b32_e32 v8, s17, v4
	v_mov_b32_e32 v7, 0
	v_cmp_ne_u64_e32 vcc, 0, v[7:8]
                                        ; implicit-def: $vgpr7_vgpr8
	s_and_saveexec_b64 s[2:3], vcc
	s_xor_b64 s[42:43], exec, s[2:3]
	s_cbranch_execz .LBB11_46
; %bb.45:
	s_ashr_i32 s44, s17, 31
	s_add_u32 s2, s16, s44
	s_mov_b32 s45, s44
	s_addc_u32 s3, s17, s44
	s_xor_b64 s[46:47], s[2:3], s[44:45]
	v_cvt_f32_u32_e32 v1, s46
	v_cvt_f32_u32_e32 v7, s47
	s_sub_u32 s24, 0, s46
	s_subb_u32 s45, 0, s47
	v_madmk_f32 v1, v7, 0x4f800000, v1
	v_rcp_f32_e32 v1, v1
	v_mul_f32_e32 v1, 0x5f7ffffc, v1
	v_mul_f32_e32 v7, 0x2f800000, v1
	v_trunc_f32_e32 v7, v7
	v_madmk_f32 v1, v7, 0xcf800000, v1
	v_cvt_u32_f32_e32 v7, v7
	v_cvt_u32_f32_e32 v1, v1
	v_readfirstlane_b32 s48, v7
	v_readfirstlane_b32 s2, v1
	s_mul_i32 s3, s24, s48
	s_mul_hi_u32 s52, s24, s2
	s_mul_i32 s49, s45, s2
	s_add_i32 s3, s52, s3
	s_add_i32 s3, s3, s49
	s_mul_i32 s53, s24, s2
	s_mul_i32 s52, s2, s3
	s_mul_hi_u32 s54, s2, s53
	s_mul_hi_u32 s49, s2, s3
	s_add_u32 s52, s54, s52
	s_addc_u32 s49, 0, s49
	s_mul_hi_u32 s55, s48, s53
	s_mul_i32 s53, s48, s53
	s_add_u32 s52, s52, s53
	s_mul_hi_u32 s54, s48, s3
	s_addc_u32 s49, s49, s55
	s_addc_u32 s52, s54, 0
	s_mul_i32 s3, s48, s3
	s_add_u32 s3, s49, s3
	s_addc_u32 s49, 0, s52
	s_add_u32 s52, s2, s3
	s_cselect_b64 s[2:3], -1, 0
	s_cmp_lg_u64 s[2:3], 0
	s_addc_u32 s48, s48, s49
	s_mul_i32 s2, s24, s48
	s_mul_hi_u32 s3, s24, s52
	s_add_i32 s2, s3, s2
	s_mul_i32 s45, s45, s52
	s_add_i32 s2, s2, s45
	s_mul_i32 s24, s24, s52
	s_mul_hi_u32 s45, s48, s24
	s_mul_i32 s49, s48, s24
	s_mul_i32 s54, s52, s2
	s_mul_hi_u32 s24, s52, s24
	s_mul_hi_u32 s53, s52, s2
	s_add_u32 s24, s24, s54
	s_addc_u32 s53, 0, s53
	s_add_u32 s24, s24, s49
	s_mul_hi_u32 s3, s48, s2
	s_addc_u32 s24, s53, s45
	s_addc_u32 s3, s3, 0
	s_mul_i32 s2, s48, s2
	s_add_u32 s2, s24, s2
	s_addc_u32 s24, 0, s3
	s_add_u32 s45, s52, s2
	s_cselect_b64 s[2:3], -1, 0
	v_ashrrev_i32_e32 v1, 31, v4
	s_cmp_lg_u64 s[2:3], 0
	v_add_co_u32_e32 v7, vcc, v3, v1
	s_addc_u32 s24, s48, s24
	v_xor_b32_e32 v12, v7, v1
	v_mad_u64_u32 v[7:8], s[2:3], v12, s24, 0
	v_mul_hi_u32 v10, v12, s45
	v_addc_co_u32_e32 v9, vcc, v4, v1, vcc
	v_xor_b32_e32 v13, v9, v1
	v_add_co_u32_e32 v14, vcc, v10, v7
	v_addc_co_u32_e32 v15, vcc, 0, v8, vcc
	v_mad_u64_u32 v[7:8], s[2:3], v13, s45, 0
	v_mad_u64_u32 v[9:10], s[2:3], v13, s24, 0
	v_add_co_u32_e32 v7, vcc, v14, v7
	v_addc_co_u32_e32 v7, vcc, v15, v8, vcc
	v_addc_co_u32_e32 v8, vcc, 0, v10, vcc
	v_add_co_u32_e32 v9, vcc, v7, v9
	v_addc_co_u32_e32 v10, vcc, 0, v8, vcc
	v_mul_lo_u32 v14, s47, v9
	v_mul_lo_u32 v15, s46, v10
	v_mad_u64_u32 v[7:8], s[2:3], s46, v9, 0
	v_xor_b32_e32 v1, s44, v1
	v_add3_u32 v8, v8, v15, v14
	v_sub_u32_e32 v14, v13, v8
	v_mov_b32_e32 v15, s47
	v_sub_co_u32_e32 v7, vcc, v12, v7
	v_subb_co_u32_e64 v12, s[2:3], v14, v15, vcc
	v_subrev_co_u32_e64 v14, s[2:3], s46, v7
	v_subbrev_co_u32_e64 v12, s[2:3], 0, v12, s[2:3]
	v_cmp_le_u32_e64 s[2:3], s47, v12
	v_cndmask_b32_e64 v15, 0, -1, s[2:3]
	v_cmp_le_u32_e64 s[2:3], s46, v14
	v_cndmask_b32_e64 v14, 0, -1, s[2:3]
	v_cmp_eq_u32_e64 s[2:3], s47, v12
	v_cndmask_b32_e64 v12, v15, v14, s[2:3]
	v_add_co_u32_e64 v14, s[2:3], 2, v9
	v_subb_co_u32_e32 v8, vcc, v13, v8, vcc
	v_addc_co_u32_e64 v15, s[2:3], 0, v10, s[2:3]
	v_cmp_le_u32_e32 vcc, s47, v8
	v_add_co_u32_e64 v16, s[2:3], 1, v9
	v_cndmask_b32_e64 v13, 0, -1, vcc
	v_cmp_le_u32_e32 vcc, s46, v7
	v_addc_co_u32_e64 v17, s[2:3], 0, v10, s[2:3]
	v_cndmask_b32_e64 v7, 0, -1, vcc
	v_cmp_eq_u32_e32 vcc, s47, v8
	v_cmp_ne_u32_e64 s[2:3], 0, v12
	v_cndmask_b32_e32 v7, v13, v7, vcc
	v_cndmask_b32_e64 v12, v17, v15, s[2:3]
	v_cmp_ne_u32_e32 vcc, 0, v7
	v_cndmask_b32_e64 v8, v16, v14, s[2:3]
	v_cndmask_b32_e32 v7, v10, v12, vcc
	v_cndmask_b32_e32 v8, v9, v8, vcc
	v_xor_b32_e32 v9, v7, v1
	v_xor_b32_e32 v7, v8, v1
	v_sub_co_u32_e32 v7, vcc, v7, v1
	v_subb_co_u32_e32 v8, vcc, v9, v1, vcc
.LBB11_46:
	s_andn2_saveexec_b64 s[2:3], s[42:43]
	s_cbranch_execz .LBB11_48
; %bb.47:
	v_cvt_f32_u32_e32 v1, s16
	s_sub_i32 s24, 0, s16
	v_rcp_iflag_f32_e32 v1, v1
	v_mul_f32_e32 v1, 0x4f7ffffe, v1
	v_cvt_u32_f32_e32 v1, v1
	v_mul_lo_u32 v7, s24, v1
	v_mul_hi_u32 v7, v1, v7
	v_add_u32_e32 v1, v1, v7
	v_mul_hi_u32 v1, v3, v1
	v_mul_lo_u32 v7, v1, s16
	v_add_u32_e32 v8, 1, v1
	v_sub_u32_e32 v7, v3, v7
	v_subrev_u32_e32 v9, s16, v7
	v_cmp_le_u32_e32 vcc, s16, v7
	v_cndmask_b32_e32 v7, v7, v9, vcc
	v_cndmask_b32_e32 v1, v1, v8, vcc
	v_add_u32_e32 v8, 1, v1
	v_cmp_le_u32_e32 vcc, s16, v7
	v_cndmask_b32_e32 v7, v1, v8, vcc
	v_mov_b32_e32 v8, 0
.LBB11_48:
	s_or_b64 exec, exec, s[2:3]
	v_mul_lo_u32 v1, v6, s16
	v_mul_lo_u32 v12, v5, s17
	v_mad_u64_u32 v[9:10], s[2:3], v5, s16, 0
	v_add3_u32 v10, v10, v12, v1
	v_cmp_gt_i64_e32 vcc, v[9:10], v[3:4]
	v_mov_b32_e32 v1, s15
	v_add_co_u32_e64 v9, s[2:3], s14, v9
	v_addc_co_u32_e64 v10, s[2:3], v10, v1, s[2:3]
	v_cmp_ge_i64_e64 s[2:3], v[3:4], v[9:10]
	s_or_b64 s[2:3], vcc, s[2:3]
	v_cndmask_b32_e64 v1, 0, 1, s[2:3]
	v_add_co_u32_e32 v9, vcc, v5, v1
	v_addc_co_u32_e32 v10, vcc, 0, v6, vcc
	v_cmp_gt_i64_e32 vcc, s[4:5], v[7:8]
	v_mov_b32_e32 v1, s5
	v_cndmask_b32_e32 v6, v1, v8, vcc
	v_mov_b32_e32 v1, s4
	v_cndmask_b32_e32 v5, v1, v7, vcc
	v_cmp_le_i64_e32 vcc, v[9:10], v[5:6]
	s_and_saveexec_b64 s[42:43], vcc
	s_cbranch_execz .LBB11_51
; %bb.49:
	global_load_ushort v12, v2, s[8:9]
	v_mul_lo_u32 v14, s17, v9
	v_mul_lo_u32 v15, s16, v10
	v_mad_u64_u32 v[7:8], s[2:3], s16, v9, 0
	v_mov_b32_e32 v13, s9
	v_add_co_u32_e32 v1, vcc, s8, v2
	v_addc_co_u32_e32 v2, vcc, 0, v13, vcc
	v_add3_u32 v8, v8, v15, v14
	v_sub_co_u32_e32 v3, vcc, v3, v7
	v_subb_co_u32_e32 v4, vcc, v4, v8, vcc
	v_mul_lo_u32 v15, s23, v3
	v_mul_lo_u32 v16, s22, v4
	v_mad_u64_u32 v[7:8], s[2:3], s22, v3, 0
	v_mul_lo_u32 v17, s21, v9
	v_mul_lo_u32 v18, s20, v10
	v_mad_u64_u32 v[13:14], s[2:3], s20, v9, 0
	v_add_co_u32_e32 v3, vcc, -1, v9
	v_add3_u32 v8, v8, v16, v15
	v_add3_u32 v14, v14, v18, v17
	v_addc_co_u32_e32 v4, vcc, -1, v10, vcc
	v_lshlrev_b64 v[7:8], 1, v[7:8]
	v_lshlrev_b64 v[9:10], 1, v[13:14]
	s_mul_i32 s24, s16, s23
	v_add_co_u32_e32 v7, vcc, v7, v9
	s_mul_hi_u32 s44, s16, s22
	v_addc_co_u32_e32 v8, vcc, v8, v10, vcc
	s_add_i32 s24, s44, s24
	s_mul_i32 s44, s17, s22
	v_add_co_u32_e32 v0, vcc, v7, v0
	s_add_i32 s45, s24, s44
	s_mul_i32 s44, s16, s22
	v_addc_co_u32_e32 v8, vcc, 0, v8, vcc
	s_lshl_b64 s[2:3], s[20:21], 1
	s_lshl_b64 s[44:45], s[44:45], 1
	v_mov_b32_e32 v9, s11
	v_add_co_u32_e32 v7, vcc, s10, v0
	s_sub_u32 s24, s2, s44
	v_addc_co_u32_e32 v8, vcc, v9, v8, vcc
	s_subb_u32 s46, s3, s45
	s_mov_b64 s[44:45], 0
	s_movk_i32 s47, 0x7fff
	v_mov_b32_e32 v0, 0x7fc0
.LBB11_50:                              ; =>This Inner Loop Header: Depth=1
	global_load_ushort v9, v[7:8], off
	s_waitcnt vmcnt(1)
	v_lshlrev_b32_e32 v10, 16, v12
	v_add_co_u32_e32 v3, vcc, 1, v3
	v_addc_co_u32_e32 v4, vcc, 0, v4, vcc
	v_mov_b32_e32 v12, s46
	v_add_co_u32_e32 v7, vcc, s24, v7
	v_cmp_ge_i64_e64 s[2:3], v[3:4], v[5:6]
	v_addc_co_u32_e32 v8, vcc, v8, v12, vcc
	s_or_b64 s[44:45], s[2:3], s[44:45]
	s_waitcnt vmcnt(0)
	v_lshlrev_b32_e32 v9, 16, v9
	v_add_f32_e32 v9, v10, v9
	v_bfe_u32 v10, v9, 16, 1
	v_add3_u32 v10, v9, v10, s47
	v_lshrrev_b32_e32 v10, 16, v10
	v_cmp_o_f32_e32 vcc, v9, v9
	v_cndmask_b32_e32 v12, v0, v10, vcc
	global_store_short v[1:2], v12, off
	s_andn2_b64 exec, exec, s[44:45]
	s_cbranch_execnz .LBB11_50
.LBB11_51:
	s_or_b64 exec, exec, s[42:43]
	v_add_u32_e32 v11, 0x100, v11
	s_or_b64 exec, exec, s[18:19]
	v_cmp_gt_i32_e32 vcc, s51, v11
	s_and_saveexec_b64 s[18:19], vcc
	s_cbranch_execz .LBB11_3
.LBB11_52:
	s_and_b64 vcc, exec, s[0:1]
	s_cbranch_vccnz .LBB11_59
; %bb.53:
	v_mov_b32_e32 v2, 0
	s_andn2_b64 vcc, exec, s[40:41]
	v_mov_b32_e32 v0, 0
	v_mov_b32_e32 v4, 0
	s_cbranch_vccnz .LBB11_58
; %bb.54:
	s_add_i32 s2, s31, 1
	s_and_b32 s24, s2, 30
	s_add_u32 s2, s33, 0xffffffe8
	s_addc_u32 s3, s50, -1
	v_mov_b32_e32 v4, 0
	v_mov_b32_e32 v0, 0
	;; [unrolled: 1-line block ×4, first 2 shown]
.LBB11_55:                              ; =>This Inner Loop Header: Depth=1
	s_load_dwordx4 s[44:47], s[2:3], 0x1c
	s_load_dwordx2 s[42:43], s[2:3], 0x2c
	s_load_dwordx2 s[48:49], s[2:3], 0xec
	s_load_dwordx4 s[52:55], s[2:3], 0xdc
	s_add_u32 s2, s2, 24
	s_waitcnt lgkmcnt(0)
	v_mul_hi_u32 v3, s45, v1
	s_addc_u32 s3, s3, 0
	s_add_i32 s24, s24, -2
	s_cmp_eq_u32 s24, 0
	v_add_u32_e32 v3, v1, v3
	v_lshrrev_b32_e32 v3, s46, v3
	v_mul_lo_u32 v5, v3, s44
	v_mul_hi_u32 v6, s42, v3
	v_sub_u32_e32 v5, v1, v5
	v_add_u32_e32 v1, v3, v6
	v_lshrrev_b32_e32 v1, s43, v1
	v_mul_lo_u32 v8, v1, s47
	v_mul_lo_u32 v6, v5, s52
	;; [unrolled: 1-line block ×4, first 2 shown]
	v_sub_u32_e32 v3, v3, v8
	v_mul_lo_u32 v8, v3, s55
	v_mul_lo_u32 v9, v3, s48
	;; [unrolled: 1-line block ×3, first 2 shown]
	v_add3_u32 v2, v6, v2, v8
	v_add3_u32 v0, v7, v0, v9
	;; [unrolled: 1-line block ×3, first 2 shown]
	s_cbranch_scc0 .LBB11_55
; %bb.56:
	s_bitcmp1_b32 s31, 0
	s_cselect_b64 s[42:43], -1, 0
	s_and_b64 vcc, exec, s[42:43]
	s_cbranch_vccnz .LBB11_58
; %bb.57:
	s_load_dwordx2 s[42:43], s[2:3], 0x1c
	s_load_dword s24, s[2:3], 0x24
	s_load_dwordx2 s[44:45], s[2:3], 0xdc
	s_waitcnt lgkmcnt(0)
	v_mul_hi_u32 v3, s43, v1
	v_add_u32_e32 v3, v1, v3
	v_lshrrev_b32_e32 v3, s24, v3
	v_mul_lo_u32 v3, v3, s42
	s_load_dword s24, s[2:3], 0xe4
	v_sub_u32_e32 v5, v1, v3
	v_mad_u64_u32 v[2:3], s[2:3], v5, s44, v[2:3]
	v_mad_u64_u32 v[0:1], s[2:3], v5, s45, v[0:1]
	s_waitcnt lgkmcnt(0)
	v_mad_u64_u32 v[4:5], s[2:3], v5, s24, v[4:5]
.LBB11_58:
	s_cbranch_execz .LBB11_60
	s_branch .LBB11_62
.LBB11_59:
                                        ; implicit-def: $vgpr2
                                        ; implicit-def: $vgpr0
                                        ; implicit-def: $vgpr4
.LBB11_60:
	v_mul_hi_u32 v0, s26, v11
	s_andn2_b64 vcc, exec, s[34:35]
	v_add_u32_e32 v0, v11, v0
	v_lshrrev_b32_e32 v1, s27, v0
	v_mul_lo_u32 v0, v1, s25
	v_sub_u32_e32 v3, v11, v0
	v_mul_lo_u32 v2, v3, s36
	v_mul_lo_u32 v0, v3, s37
	;; [unrolled: 1-line block ×3, first 2 shown]
	s_cbranch_vccnz .LBB11_62
; %bb.61:
	v_mul_hi_u32 v3, s29, v1
	v_add_u32_e32 v3, v1, v3
	v_lshrrev_b32_e32 v3, s30, v3
	v_mul_lo_u32 v3, v3, s28
	v_sub_u32_e32 v5, v1, v3
	v_mad_u64_u32 v[2:3], s[2:3], v5, s39, v[2:3]
	v_mad_u64_u32 v[0:1], s[2:3], v5, s6, v[0:1]
	;; [unrolled: 1-line block ×3, first 2 shown]
.LBB11_62:
	global_load_dwordx2 v[3:4], v4, s[12:13]
	v_mov_b32_e32 v5, 0
	v_mov_b32_e32 v6, 0
	s_waitcnt vmcnt(0)
	v_cmp_lt_i64_e32 vcc, s[14:15], v[3:4]
	s_and_saveexec_b64 s[42:43], vcc
	s_cbranch_execz .LBB11_68
; %bb.63:
	v_mov_b32_e32 v5, s15
	v_subrev_co_u32_e32 v1, vcc, s14, v3
	v_subb_co_u32_e32 v7, vcc, v4, v5, vcc
	v_or_b32_e32 v6, s17, v7
	v_mov_b32_e32 v5, 0
	v_cmp_ne_u64_e32 vcc, 0, v[5:6]
                                        ; implicit-def: $vgpr5_vgpr6
	s_and_saveexec_b64 s[2:3], vcc
	s_xor_b64 s[44:45], exec, s[2:3]
	s_cbranch_execz .LBB11_65
; %bb.64:
	s_ashr_i32 s46, s17, 31
	s_add_u32 s2, s16, s46
	s_mov_b32 s47, s46
	s_addc_u32 s3, s17, s46
	s_xor_b64 s[48:49], s[2:3], s[46:47]
	v_cvt_f32_u32_e32 v5, s48
	v_cvt_f32_u32_e32 v6, s49
	s_sub_u32 s24, 0, s48
	s_subb_u32 s47, 0, s49
	v_ashrrev_i32_e32 v9, 31, v7
	v_madmk_f32 v5, v6, 0x4f800000, v5
	v_rcp_f32_e32 v5, v5
	v_add_co_u32_e32 v1, vcc, v1, v9
	v_xor_b32_e32 v1, v1, v9
	v_mul_f32_e32 v5, 0x5f7ffffc, v5
	v_mul_f32_e32 v6, 0x2f800000, v5
	v_trunc_f32_e32 v6, v6
	v_madmk_f32 v5, v6, 0xcf800000, v5
	v_cvt_u32_f32_e32 v6, v6
	v_cvt_u32_f32_e32 v5, v5
	v_addc_co_u32_e32 v7, vcc, v7, v9, vcc
	v_readfirstlane_b32 s52, v6
	v_readfirstlane_b32 s2, v5
	s_mul_i32 s3, s24, s52
	s_mul_hi_u32 s54, s24, s2
	s_mul_i32 s53, s47, s2
	s_add_i32 s3, s54, s3
	s_add_i32 s3, s3, s53
	s_mul_i32 s55, s24, s2
	s_mul_i32 s54, s2, s3
	s_mul_hi_u32 s56, s2, s55
	s_mul_hi_u32 s53, s2, s3
	s_add_u32 s54, s56, s54
	s_addc_u32 s53, 0, s53
	s_mul_hi_u32 s57, s52, s55
	s_mul_i32 s55, s52, s55
	s_add_u32 s54, s54, s55
	s_mul_hi_u32 s56, s52, s3
	s_addc_u32 s53, s53, s57
	s_addc_u32 s54, s56, 0
	s_mul_i32 s3, s52, s3
	s_add_u32 s3, s53, s3
	s_addc_u32 s53, 0, s54
	s_add_u32 s54, s2, s3
	s_cselect_b64 s[2:3], -1, 0
	s_cmp_lg_u64 s[2:3], 0
	s_addc_u32 s52, s52, s53
	s_mul_i32 s2, s24, s52
	s_mul_hi_u32 s3, s24, s54
	s_add_i32 s2, s3, s2
	s_mul_i32 s47, s47, s54
	s_add_i32 s2, s2, s47
	s_mul_i32 s24, s24, s54
	s_mul_hi_u32 s47, s52, s24
	s_mul_i32 s53, s52, s24
	s_mul_i32 s56, s54, s2
	s_mul_hi_u32 s24, s54, s24
	s_mul_hi_u32 s55, s54, s2
	s_add_u32 s24, s24, s56
	s_addc_u32 s55, 0, s55
	s_add_u32 s24, s24, s53
	s_mul_hi_u32 s3, s52, s2
	s_addc_u32 s24, s55, s47
	s_addc_u32 s3, s3, 0
	s_mul_i32 s2, s52, s2
	s_add_u32 s2, s24, s2
	s_addc_u32 s24, 0, s3
	s_add_u32 s47, s54, s2
	s_cselect_b64 s[2:3], -1, 0
	s_cmp_lg_u64 s[2:3], 0
	s_addc_u32 s24, s52, s24
	v_mad_u64_u32 v[5:6], s[2:3], v1, s24, 0
	v_mul_hi_u32 v8, v1, s47
	v_xor_b32_e32 v10, v7, v9
	v_add_co_u32_e32 v12, vcc, v8, v5
	v_addc_co_u32_e32 v13, vcc, 0, v6, vcc
	v_mad_u64_u32 v[5:6], s[2:3], v10, s47, 0
	v_mad_u64_u32 v[7:8], s[2:3], v10, s24, 0
	v_add_co_u32_e32 v5, vcc, v12, v5
	v_addc_co_u32_e32 v5, vcc, v13, v6, vcc
	v_addc_co_u32_e32 v6, vcc, 0, v8, vcc
	v_add_co_u32_e32 v7, vcc, v5, v7
	v_addc_co_u32_e32 v8, vcc, 0, v6, vcc
	v_mul_lo_u32 v12, s49, v7
	v_mul_lo_u32 v13, s48, v8
	v_mad_u64_u32 v[5:6], s[2:3], s48, v7, 0
	v_add3_u32 v6, v6, v13, v12
	v_sub_u32_e32 v12, v10, v6
	v_mov_b32_e32 v13, s49
	v_sub_co_u32_e32 v1, vcc, v1, v5
	v_subb_co_u32_e64 v5, s[2:3], v12, v13, vcc
	v_subrev_co_u32_e64 v12, s[2:3], s48, v1
	v_subbrev_co_u32_e64 v5, s[2:3], 0, v5, s[2:3]
	v_cmp_le_u32_e64 s[2:3], s49, v5
	v_cndmask_b32_e64 v13, 0, -1, s[2:3]
	v_cmp_le_u32_e64 s[2:3], s48, v12
	v_cndmask_b32_e64 v12, 0, -1, s[2:3]
	v_cmp_eq_u32_e64 s[2:3], s49, v5
	v_cndmask_b32_e64 v5, v13, v12, s[2:3]
	v_add_co_u32_e64 v12, s[2:3], 2, v7
	v_subb_co_u32_e32 v6, vcc, v10, v6, vcc
	v_addc_co_u32_e64 v13, s[2:3], 0, v8, s[2:3]
	v_cmp_le_u32_e32 vcc, s49, v6
	v_add_co_u32_e64 v14, s[2:3], 1, v7
	v_cndmask_b32_e64 v10, 0, -1, vcc
	v_cmp_le_u32_e32 vcc, s48, v1
	v_addc_co_u32_e64 v15, s[2:3], 0, v8, s[2:3]
	v_cndmask_b32_e64 v1, 0, -1, vcc
	v_cmp_eq_u32_e32 vcc, s49, v6
	v_cmp_ne_u32_e64 s[2:3], 0, v5
	v_cndmask_b32_e32 v1, v10, v1, vcc
	v_cndmask_b32_e64 v5, v15, v13, s[2:3]
	v_cmp_ne_u32_e32 vcc, 0, v1
	v_cndmask_b32_e32 v1, v8, v5, vcc
	v_cndmask_b32_e64 v5, v14, v12, s[2:3]
	v_cndmask_b32_e32 v5, v7, v5, vcc
	v_xor_b32_e32 v6, s46, v9
	v_xor_b32_e32 v5, v5, v6
	;; [unrolled: 1-line block ×3, first 2 shown]
	v_sub_co_u32_e32 v5, vcc, v5, v6
	v_subb_co_u32_e32 v6, vcc, v1, v6, vcc
                                        ; implicit-def: $vgpr1
.LBB11_65:
	s_andn2_saveexec_b64 s[2:3], s[44:45]
	s_cbranch_execz .LBB11_67
; %bb.66:
	v_cvt_f32_u32_e32 v5, s16
	s_sub_i32 s24, 0, s16
	v_rcp_iflag_f32_e32 v5, v5
	v_mul_f32_e32 v5, 0x4f7ffffe, v5
	v_cvt_u32_f32_e32 v5, v5
	v_mul_lo_u32 v6, s24, v5
	v_mul_hi_u32 v6, v5, v6
	v_add_u32_e32 v5, v5, v6
	v_mul_hi_u32 v5, v1, v5
	v_mul_lo_u32 v6, v5, s16
	v_add_u32_e32 v7, 1, v5
	v_sub_u32_e32 v1, v1, v6
	v_subrev_u32_e32 v6, s16, v1
	v_cmp_le_u32_e32 vcc, s16, v1
	v_cndmask_b32_e32 v1, v1, v6, vcc
	v_cndmask_b32_e32 v5, v5, v7, vcc
	v_add_u32_e32 v6, 1, v5
	v_cmp_le_u32_e32 vcc, s16, v1
	v_cndmask_b32_e32 v5, v5, v6, vcc
	v_mov_b32_e32 v6, 0
.LBB11_67:
	s_or_b64 exec, exec, s[2:3]
.LBB11_68:
	s_or_b64 exec, exec, s[42:43]
	v_or_b32_e32 v8, s17, v4
	v_mov_b32_e32 v7, 0
	v_cmp_ne_u64_e32 vcc, 0, v[7:8]
                                        ; implicit-def: $vgpr7_vgpr8
	s_and_saveexec_b64 s[2:3], vcc
	s_xor_b64 s[42:43], exec, s[2:3]
	s_cbranch_execz .LBB11_70
; %bb.69:
	s_ashr_i32 s44, s17, 31
	s_add_u32 s2, s16, s44
	s_mov_b32 s45, s44
	s_addc_u32 s3, s17, s44
	s_xor_b64 s[46:47], s[2:3], s[44:45]
	v_cvt_f32_u32_e32 v1, s46
	v_cvt_f32_u32_e32 v7, s47
	s_sub_u32 s24, 0, s46
	s_subb_u32 s45, 0, s47
	v_madmk_f32 v1, v7, 0x4f800000, v1
	v_rcp_f32_e32 v1, v1
	v_mul_f32_e32 v1, 0x5f7ffffc, v1
	v_mul_f32_e32 v7, 0x2f800000, v1
	v_trunc_f32_e32 v7, v7
	v_madmk_f32 v1, v7, 0xcf800000, v1
	v_cvt_u32_f32_e32 v7, v7
	v_cvt_u32_f32_e32 v1, v1
	v_readfirstlane_b32 s48, v7
	v_readfirstlane_b32 s2, v1
	s_mul_i32 s3, s24, s48
	s_mul_hi_u32 s52, s24, s2
	s_mul_i32 s49, s45, s2
	s_add_i32 s3, s52, s3
	s_add_i32 s3, s3, s49
	s_mul_i32 s53, s24, s2
	s_mul_i32 s52, s2, s3
	s_mul_hi_u32 s54, s2, s53
	s_mul_hi_u32 s49, s2, s3
	s_add_u32 s52, s54, s52
	s_addc_u32 s49, 0, s49
	s_mul_hi_u32 s55, s48, s53
	s_mul_i32 s53, s48, s53
	s_add_u32 s52, s52, s53
	s_mul_hi_u32 s54, s48, s3
	s_addc_u32 s49, s49, s55
	s_addc_u32 s52, s54, 0
	s_mul_i32 s3, s48, s3
	s_add_u32 s3, s49, s3
	s_addc_u32 s49, 0, s52
	s_add_u32 s52, s2, s3
	s_cselect_b64 s[2:3], -1, 0
	s_cmp_lg_u64 s[2:3], 0
	s_addc_u32 s48, s48, s49
	s_mul_i32 s2, s24, s48
	s_mul_hi_u32 s3, s24, s52
	s_add_i32 s2, s3, s2
	s_mul_i32 s45, s45, s52
	s_add_i32 s2, s2, s45
	s_mul_i32 s24, s24, s52
	s_mul_hi_u32 s45, s48, s24
	s_mul_i32 s49, s48, s24
	s_mul_i32 s54, s52, s2
	s_mul_hi_u32 s24, s52, s24
	s_mul_hi_u32 s53, s52, s2
	s_add_u32 s24, s24, s54
	s_addc_u32 s53, 0, s53
	s_add_u32 s24, s24, s49
	s_mul_hi_u32 s3, s48, s2
	s_addc_u32 s24, s53, s45
	s_addc_u32 s3, s3, 0
	s_mul_i32 s2, s48, s2
	s_add_u32 s2, s24, s2
	s_addc_u32 s24, 0, s3
	s_add_u32 s45, s52, s2
	s_cselect_b64 s[2:3], -1, 0
	v_ashrrev_i32_e32 v1, 31, v4
	s_cmp_lg_u64 s[2:3], 0
	v_add_co_u32_e32 v7, vcc, v3, v1
	s_addc_u32 s24, s48, s24
	v_xor_b32_e32 v12, v7, v1
	v_mad_u64_u32 v[7:8], s[2:3], v12, s24, 0
	v_mul_hi_u32 v10, v12, s45
	v_addc_co_u32_e32 v9, vcc, v4, v1, vcc
	v_xor_b32_e32 v13, v9, v1
	v_add_co_u32_e32 v14, vcc, v10, v7
	v_addc_co_u32_e32 v15, vcc, 0, v8, vcc
	v_mad_u64_u32 v[7:8], s[2:3], v13, s45, 0
	v_mad_u64_u32 v[9:10], s[2:3], v13, s24, 0
	v_add_co_u32_e32 v7, vcc, v14, v7
	v_addc_co_u32_e32 v7, vcc, v15, v8, vcc
	v_addc_co_u32_e32 v8, vcc, 0, v10, vcc
	v_add_co_u32_e32 v9, vcc, v7, v9
	v_addc_co_u32_e32 v10, vcc, 0, v8, vcc
	v_mul_lo_u32 v14, s47, v9
	v_mul_lo_u32 v15, s46, v10
	v_mad_u64_u32 v[7:8], s[2:3], s46, v9, 0
	v_xor_b32_e32 v1, s44, v1
	v_add3_u32 v8, v8, v15, v14
	v_sub_u32_e32 v14, v13, v8
	v_mov_b32_e32 v15, s47
	v_sub_co_u32_e32 v7, vcc, v12, v7
	v_subb_co_u32_e64 v12, s[2:3], v14, v15, vcc
	v_subrev_co_u32_e64 v14, s[2:3], s46, v7
	v_subbrev_co_u32_e64 v12, s[2:3], 0, v12, s[2:3]
	v_cmp_le_u32_e64 s[2:3], s47, v12
	v_cndmask_b32_e64 v15, 0, -1, s[2:3]
	v_cmp_le_u32_e64 s[2:3], s46, v14
	v_cndmask_b32_e64 v14, 0, -1, s[2:3]
	v_cmp_eq_u32_e64 s[2:3], s47, v12
	v_cndmask_b32_e64 v12, v15, v14, s[2:3]
	v_add_co_u32_e64 v14, s[2:3], 2, v9
	v_subb_co_u32_e32 v8, vcc, v13, v8, vcc
	v_addc_co_u32_e64 v15, s[2:3], 0, v10, s[2:3]
	v_cmp_le_u32_e32 vcc, s47, v8
	v_add_co_u32_e64 v16, s[2:3], 1, v9
	v_cndmask_b32_e64 v13, 0, -1, vcc
	v_cmp_le_u32_e32 vcc, s46, v7
	v_addc_co_u32_e64 v17, s[2:3], 0, v10, s[2:3]
	v_cndmask_b32_e64 v7, 0, -1, vcc
	v_cmp_eq_u32_e32 vcc, s47, v8
	v_cmp_ne_u32_e64 s[2:3], 0, v12
	v_cndmask_b32_e32 v7, v13, v7, vcc
	v_cndmask_b32_e64 v12, v17, v15, s[2:3]
	v_cmp_ne_u32_e32 vcc, 0, v7
	v_cndmask_b32_e64 v8, v16, v14, s[2:3]
	v_cndmask_b32_e32 v7, v10, v12, vcc
	v_cndmask_b32_e32 v8, v9, v8, vcc
	v_xor_b32_e32 v9, v7, v1
	v_xor_b32_e32 v7, v8, v1
	v_sub_co_u32_e32 v7, vcc, v7, v1
	v_subb_co_u32_e32 v8, vcc, v9, v1, vcc
.LBB11_70:
	s_andn2_saveexec_b64 s[2:3], s[42:43]
	s_cbranch_execz .LBB11_72
; %bb.71:
	v_cvt_f32_u32_e32 v1, s16
	s_sub_i32 s24, 0, s16
	v_rcp_iflag_f32_e32 v1, v1
	v_mul_f32_e32 v1, 0x4f7ffffe, v1
	v_cvt_u32_f32_e32 v1, v1
	v_mul_lo_u32 v7, s24, v1
	v_mul_hi_u32 v7, v1, v7
	v_add_u32_e32 v1, v1, v7
	v_mul_hi_u32 v1, v3, v1
	v_mul_lo_u32 v7, v1, s16
	v_add_u32_e32 v8, 1, v1
	v_sub_u32_e32 v7, v3, v7
	v_subrev_u32_e32 v9, s16, v7
	v_cmp_le_u32_e32 vcc, s16, v7
	v_cndmask_b32_e32 v7, v7, v9, vcc
	v_cndmask_b32_e32 v1, v1, v8, vcc
	v_add_u32_e32 v8, 1, v1
	v_cmp_le_u32_e32 vcc, s16, v7
	v_cndmask_b32_e32 v7, v1, v8, vcc
	v_mov_b32_e32 v8, 0
.LBB11_72:
	s_or_b64 exec, exec, s[2:3]
	v_mul_lo_u32 v1, v6, s16
	v_mul_lo_u32 v12, v5, s17
	v_mad_u64_u32 v[9:10], s[2:3], v5, s16, 0
	v_add3_u32 v10, v10, v12, v1
	v_cmp_gt_i64_e32 vcc, v[9:10], v[3:4]
	v_mov_b32_e32 v1, s15
	v_add_co_u32_e64 v9, s[2:3], s14, v9
	v_addc_co_u32_e64 v10, s[2:3], v10, v1, s[2:3]
	v_cmp_ge_i64_e64 s[2:3], v[3:4], v[9:10]
	s_or_b64 s[2:3], vcc, s[2:3]
	v_cndmask_b32_e64 v1, 0, 1, s[2:3]
	v_add_co_u32_e32 v9, vcc, v5, v1
	v_addc_co_u32_e32 v10, vcc, 0, v6, vcc
	v_cmp_gt_i64_e32 vcc, s[4:5], v[7:8]
	v_mov_b32_e32 v1, s5
	v_cndmask_b32_e32 v6, v1, v8, vcc
	v_mov_b32_e32 v1, s4
	v_cndmask_b32_e32 v5, v1, v7, vcc
	v_cmp_le_i64_e32 vcc, v[9:10], v[5:6]
	s_and_saveexec_b64 s[42:43], vcc
	s_cbranch_execz .LBB11_75
; %bb.73:
	global_load_ushort v12, v2, s[8:9]
	v_mul_lo_u32 v14, s17, v9
	v_mul_lo_u32 v15, s16, v10
	v_mad_u64_u32 v[7:8], s[2:3], s16, v9, 0
	v_mov_b32_e32 v13, s9
	v_add_co_u32_e32 v1, vcc, s8, v2
	v_addc_co_u32_e32 v2, vcc, 0, v13, vcc
	v_add3_u32 v8, v8, v15, v14
	v_sub_co_u32_e32 v3, vcc, v3, v7
	v_subb_co_u32_e32 v4, vcc, v4, v8, vcc
	v_mul_lo_u32 v15, s23, v3
	v_mul_lo_u32 v16, s22, v4
	v_mad_u64_u32 v[7:8], s[2:3], s22, v3, 0
	v_mul_lo_u32 v17, s21, v9
	v_mul_lo_u32 v18, s20, v10
	v_mad_u64_u32 v[13:14], s[2:3], s20, v9, 0
	v_add_co_u32_e32 v3, vcc, -1, v9
	v_add3_u32 v8, v8, v16, v15
	v_add3_u32 v14, v14, v18, v17
	v_addc_co_u32_e32 v4, vcc, -1, v10, vcc
	v_lshlrev_b64 v[7:8], 1, v[7:8]
	v_lshlrev_b64 v[9:10], 1, v[13:14]
	s_mul_i32 s24, s16, s23
	v_add_co_u32_e32 v7, vcc, v7, v9
	s_mul_hi_u32 s44, s16, s22
	v_addc_co_u32_e32 v8, vcc, v8, v10, vcc
	s_add_i32 s24, s44, s24
	s_mul_i32 s44, s17, s22
	v_add_co_u32_e32 v0, vcc, v7, v0
	s_add_i32 s45, s24, s44
	s_mul_i32 s44, s16, s22
	v_addc_co_u32_e32 v8, vcc, 0, v8, vcc
	s_lshl_b64 s[2:3], s[20:21], 1
	s_lshl_b64 s[44:45], s[44:45], 1
	v_mov_b32_e32 v9, s11
	v_add_co_u32_e32 v7, vcc, s10, v0
	s_sub_u32 s24, s2, s44
	v_addc_co_u32_e32 v8, vcc, v9, v8, vcc
	s_subb_u32 s46, s3, s45
	s_mov_b64 s[44:45], 0
	s_movk_i32 s47, 0x7fff
	v_mov_b32_e32 v0, 0x7fc0
.LBB11_74:                              ; =>This Inner Loop Header: Depth=1
	global_load_ushort v9, v[7:8], off
	s_waitcnt vmcnt(1)
	v_lshlrev_b32_e32 v10, 16, v12
	v_add_co_u32_e32 v3, vcc, 1, v3
	v_addc_co_u32_e32 v4, vcc, 0, v4, vcc
	v_mov_b32_e32 v12, s46
	v_add_co_u32_e32 v7, vcc, s24, v7
	v_cmp_ge_i64_e64 s[2:3], v[3:4], v[5:6]
	v_addc_co_u32_e32 v8, vcc, v8, v12, vcc
	s_or_b64 s[44:45], s[2:3], s[44:45]
	s_waitcnt vmcnt(0)
	v_lshlrev_b32_e32 v9, 16, v9
	v_add_f32_e32 v9, v10, v9
	v_bfe_u32 v10, v9, 16, 1
	v_add3_u32 v10, v9, v10, s47
	v_lshrrev_b32_e32 v10, 16, v10
	v_cmp_o_f32_e32 vcc, v9, v9
	v_cndmask_b32_e32 v12, v0, v10, vcc
	global_store_short v[1:2], v12, off
	s_andn2_b64 exec, exec, s[44:45]
	s_cbranch_execnz .LBB11_74
.LBB11_75:
	s_or_b64 exec, exec, s[42:43]
	v_add_u32_e32 v11, 0x100, v11
	s_or_b64 exec, exec, s[18:19]
	v_cmp_gt_i32_e32 vcc, s51, v11
	s_and_saveexec_b64 s[2:3], vcc
	s_cbranch_execz .LBB11_99
.LBB11_76:
	s_and_b64 vcc, exec, s[0:1]
	s_cbranch_vccnz .LBB11_83
; %bb.77:
	v_mov_b32_e32 v2, 0
	s_andn2_b64 vcc, exec, s[40:41]
	v_mov_b32_e32 v0, 0
	v_mov_b32_e32 v4, 0
	s_cbranch_vccnz .LBB11_82
; %bb.78:
	s_add_i32 s0, s31, 1
	s_and_b32 s2, s0, 30
	s_add_u32 s0, s33, 0xffffffe8
	s_addc_u32 s1, s50, -1
	v_mov_b32_e32 v4, 0
	v_mov_b32_e32 v0, 0
	;; [unrolled: 1-line block ×4, first 2 shown]
.LBB11_79:                              ; =>This Inner Loop Header: Depth=1
	s_load_dwordx4 s[40:43], s[0:1], 0x1c
	s_load_dwordx2 s[18:19], s[0:1], 0x2c
	s_load_dwordx2 s[48:49], s[0:1], 0xec
	s_load_dwordx4 s[44:47], s[0:1], 0xdc
	s_add_u32 s0, s0, 24
	s_waitcnt lgkmcnt(0)
	v_mul_hi_u32 v3, s41, v1
	s_addc_u32 s1, s1, 0
	s_add_i32 s2, s2, -2
	s_cmp_eq_u32 s2, 0
	v_add_u32_e32 v3, v1, v3
	v_lshrrev_b32_e32 v3, s42, v3
	v_mul_lo_u32 v5, v3, s40
	v_mul_hi_u32 v6, s18, v3
	v_sub_u32_e32 v5, v1, v5
	v_add_u32_e32 v1, v3, v6
	v_lshrrev_b32_e32 v1, s19, v1
	v_mul_lo_u32 v8, v1, s43
	v_mul_lo_u32 v6, v5, s44
	;; [unrolled: 1-line block ×4, first 2 shown]
	v_sub_u32_e32 v3, v3, v8
	v_mul_lo_u32 v8, v3, s47
	v_mul_lo_u32 v9, v3, s48
	;; [unrolled: 1-line block ×3, first 2 shown]
	v_add3_u32 v2, v6, v2, v8
	v_add3_u32 v0, v7, v0, v9
	;; [unrolled: 1-line block ×3, first 2 shown]
	s_cbranch_scc0 .LBB11_79
; %bb.80:
	s_bitcmp1_b32 s31, 0
	s_cselect_b64 s[2:3], -1, 0
	s_and_b64 vcc, exec, s[2:3]
	s_cbranch_vccnz .LBB11_82
; %bb.81:
	s_load_dwordx2 s[2:3], s[0:1], 0x1c
	s_load_dword s24, s[0:1], 0x24
	s_load_dwordx2 s[18:19], s[0:1], 0xdc
	s_waitcnt lgkmcnt(0)
	v_mul_hi_u32 v3, s3, v1
	v_add_u32_e32 v3, v1, v3
	v_lshrrev_b32_e32 v3, s24, v3
	v_mul_lo_u32 v3, v3, s2
	s_load_dword s2, s[0:1], 0xe4
	v_sub_u32_e32 v5, v1, v3
	v_mad_u64_u32 v[2:3], s[0:1], v5, s18, v[2:3]
	v_mad_u64_u32 v[0:1], s[0:1], v5, s19, v[0:1]
	s_waitcnt lgkmcnt(0)
	v_mad_u64_u32 v[4:5], s[0:1], v5, s2, v[4:5]
.LBB11_82:
	s_cbranch_execz .LBB11_84
	s_branch .LBB11_86
.LBB11_83:
                                        ; implicit-def: $vgpr2
                                        ; implicit-def: $vgpr0
                                        ; implicit-def: $vgpr4
.LBB11_84:
	v_mul_hi_u32 v0, s26, v11
	s_andn2_b64 vcc, exec, s[34:35]
	v_add_u32_e32 v0, v11, v0
	v_lshrrev_b32_e32 v1, s27, v0
	v_mul_lo_u32 v0, v1, s25
	v_sub_u32_e32 v3, v11, v0
	v_mul_lo_u32 v2, v3, s36
	v_mul_lo_u32 v0, v3, s37
	;; [unrolled: 1-line block ×3, first 2 shown]
	s_cbranch_vccnz .LBB11_86
; %bb.85:
	v_mul_hi_u32 v3, s29, v1
	v_add_u32_e32 v3, v1, v3
	v_lshrrev_b32_e32 v3, s30, v3
	v_mul_lo_u32 v3, v3, s28
	v_sub_u32_e32 v5, v1, v3
	v_mad_u64_u32 v[2:3], s[0:1], v5, s39, v[2:3]
	v_mad_u64_u32 v[0:1], s[0:1], v5, s6, v[0:1]
	;; [unrolled: 1-line block ×3, first 2 shown]
.LBB11_86:
	global_load_dwordx2 v[3:4], v4, s[12:13]
	v_mov_b32_e32 v5, 0
	v_mov_b32_e32 v6, 0
	s_waitcnt vmcnt(0)
	v_cmp_lt_i64_e32 vcc, s[14:15], v[3:4]
	s_and_saveexec_b64 s[2:3], vcc
	s_cbranch_execz .LBB11_92
; %bb.87:
	v_mov_b32_e32 v5, s15
	v_subrev_co_u32_e32 v1, vcc, s14, v3
	v_subb_co_u32_e32 v7, vcc, v4, v5, vcc
	v_or_b32_e32 v6, s17, v7
	v_mov_b32_e32 v5, 0
	v_cmp_ne_u64_e32 vcc, 0, v[5:6]
                                        ; implicit-def: $vgpr5_vgpr6
	s_and_saveexec_b64 s[0:1], vcc
	s_xor_b64 s[6:7], exec, s[0:1]
	s_cbranch_execz .LBB11_89
; %bb.88:
	s_ashr_i32 s12, s17, 31
	s_add_u32 s0, s16, s12
	s_mov_b32 s13, s12
	s_addc_u32 s1, s17, s12
	s_xor_b64 s[18:19], s[0:1], s[12:13]
	v_cvt_f32_u32_e32 v5, s18
	v_cvt_f32_u32_e32 v6, s19
	s_sub_u32 s13, 0, s18
	s_subb_u32 s24, 0, s19
	v_ashrrev_i32_e32 v9, 31, v7
	v_madmk_f32 v5, v6, 0x4f800000, v5
	v_rcp_f32_e32 v5, v5
	v_add_co_u32_e32 v1, vcc, v1, v9
	v_xor_b32_e32 v1, v1, v9
	v_mul_f32_e32 v5, 0x5f7ffffc, v5
	v_mul_f32_e32 v6, 0x2f800000, v5
	v_trunc_f32_e32 v6, v6
	v_madmk_f32 v5, v6, 0xcf800000, v5
	v_cvt_u32_f32_e32 v6, v6
	v_cvt_u32_f32_e32 v5, v5
	v_addc_co_u32_e32 v7, vcc, v7, v9, vcc
	v_readfirstlane_b32 s25, v6
	v_readfirstlane_b32 s0, v5
	s_mul_i32 s1, s13, s25
	s_mul_hi_u32 s27, s13, s0
	s_mul_i32 s26, s24, s0
	s_add_i32 s1, s27, s1
	s_add_i32 s1, s1, s26
	s_mul_i32 s28, s13, s0
	s_mul_i32 s27, s0, s1
	s_mul_hi_u32 s29, s0, s28
	s_mul_hi_u32 s26, s0, s1
	s_add_u32 s27, s29, s27
	s_addc_u32 s26, 0, s26
	s_mul_hi_u32 s30, s25, s28
	s_mul_i32 s28, s25, s28
	s_add_u32 s27, s27, s28
	s_mul_hi_u32 s29, s25, s1
	s_addc_u32 s26, s26, s30
	s_addc_u32 s27, s29, 0
	s_mul_i32 s1, s25, s1
	s_add_u32 s1, s26, s1
	s_addc_u32 s26, 0, s27
	s_add_u32 s27, s0, s1
	s_cselect_b64 s[0:1], -1, 0
	s_cmp_lg_u64 s[0:1], 0
	s_addc_u32 s25, s25, s26
	s_mul_i32 s0, s13, s25
	s_mul_hi_u32 s1, s13, s27
	s_add_i32 s0, s1, s0
	s_mul_i32 s24, s24, s27
	s_add_i32 s0, s0, s24
	s_mul_i32 s13, s13, s27
	s_mul_hi_u32 s24, s25, s13
	s_mul_i32 s26, s25, s13
	s_mul_i32 s29, s27, s0
	s_mul_hi_u32 s13, s27, s13
	s_mul_hi_u32 s28, s27, s0
	s_add_u32 s13, s13, s29
	s_addc_u32 s28, 0, s28
	s_add_u32 s13, s13, s26
	s_mul_hi_u32 s1, s25, s0
	s_addc_u32 s13, s28, s24
	s_addc_u32 s1, s1, 0
	s_mul_i32 s0, s25, s0
	s_add_u32 s0, s13, s0
	s_addc_u32 s13, 0, s1
	s_add_u32 s24, s27, s0
	s_cselect_b64 s[0:1], -1, 0
	s_cmp_lg_u64 s[0:1], 0
	s_addc_u32 s13, s25, s13
	v_mad_u64_u32 v[5:6], s[0:1], v1, s13, 0
	v_mul_hi_u32 v8, v1, s24
	v_xor_b32_e32 v10, v7, v9
	v_add_co_u32_e32 v11, vcc, v8, v5
	v_addc_co_u32_e32 v12, vcc, 0, v6, vcc
	v_mad_u64_u32 v[5:6], s[0:1], v10, s24, 0
	v_mad_u64_u32 v[7:8], s[0:1], v10, s13, 0
	v_add_co_u32_e32 v5, vcc, v11, v5
	v_addc_co_u32_e32 v5, vcc, v12, v6, vcc
	v_addc_co_u32_e32 v6, vcc, 0, v8, vcc
	v_add_co_u32_e32 v7, vcc, v5, v7
	v_addc_co_u32_e32 v8, vcc, 0, v6, vcc
	v_mul_lo_u32 v11, s19, v7
	v_mul_lo_u32 v12, s18, v8
	v_mad_u64_u32 v[5:6], s[0:1], s18, v7, 0
	v_add3_u32 v6, v6, v12, v11
	v_sub_u32_e32 v11, v10, v6
	v_mov_b32_e32 v12, s19
	v_sub_co_u32_e32 v1, vcc, v1, v5
	v_subb_co_u32_e64 v5, s[0:1], v11, v12, vcc
	v_subrev_co_u32_e64 v11, s[0:1], s18, v1
	v_subbrev_co_u32_e64 v5, s[0:1], 0, v5, s[0:1]
	v_cmp_le_u32_e64 s[0:1], s19, v5
	v_cndmask_b32_e64 v12, 0, -1, s[0:1]
	v_cmp_le_u32_e64 s[0:1], s18, v11
	v_cndmask_b32_e64 v11, 0, -1, s[0:1]
	v_cmp_eq_u32_e64 s[0:1], s19, v5
	v_cndmask_b32_e64 v5, v12, v11, s[0:1]
	v_add_co_u32_e64 v11, s[0:1], 2, v7
	v_subb_co_u32_e32 v6, vcc, v10, v6, vcc
	v_addc_co_u32_e64 v12, s[0:1], 0, v8, s[0:1]
	v_cmp_le_u32_e32 vcc, s19, v6
	v_add_co_u32_e64 v13, s[0:1], 1, v7
	v_cndmask_b32_e64 v10, 0, -1, vcc
	v_cmp_le_u32_e32 vcc, s18, v1
	v_addc_co_u32_e64 v14, s[0:1], 0, v8, s[0:1]
	v_cndmask_b32_e64 v1, 0, -1, vcc
	v_cmp_eq_u32_e32 vcc, s19, v6
	v_cmp_ne_u32_e64 s[0:1], 0, v5
	v_cndmask_b32_e32 v1, v10, v1, vcc
	v_cndmask_b32_e64 v5, v14, v12, s[0:1]
	v_cmp_ne_u32_e32 vcc, 0, v1
	v_cndmask_b32_e32 v1, v8, v5, vcc
	v_cndmask_b32_e64 v5, v13, v11, s[0:1]
	v_cndmask_b32_e32 v5, v7, v5, vcc
	v_xor_b32_e32 v6, s12, v9
	v_xor_b32_e32 v5, v5, v6
	;; [unrolled: 1-line block ×3, first 2 shown]
	v_sub_co_u32_e32 v5, vcc, v5, v6
	v_subb_co_u32_e32 v6, vcc, v1, v6, vcc
                                        ; implicit-def: $vgpr1
.LBB11_89:
	s_andn2_saveexec_b64 s[0:1], s[6:7]
	s_cbranch_execz .LBB11_91
; %bb.90:
	v_cvt_f32_u32_e32 v5, s16
	s_sub_i32 s6, 0, s16
	v_rcp_iflag_f32_e32 v5, v5
	v_mul_f32_e32 v5, 0x4f7ffffe, v5
	v_cvt_u32_f32_e32 v5, v5
	v_mul_lo_u32 v6, s6, v5
	v_mul_hi_u32 v6, v5, v6
	v_add_u32_e32 v5, v5, v6
	v_mul_hi_u32 v5, v1, v5
	v_mul_lo_u32 v6, v5, s16
	v_add_u32_e32 v7, 1, v5
	v_sub_u32_e32 v1, v1, v6
	v_subrev_u32_e32 v6, s16, v1
	v_cmp_le_u32_e32 vcc, s16, v1
	v_cndmask_b32_e32 v1, v1, v6, vcc
	v_cndmask_b32_e32 v5, v5, v7, vcc
	v_add_u32_e32 v6, 1, v5
	v_cmp_le_u32_e32 vcc, s16, v1
	v_cndmask_b32_e32 v5, v5, v6, vcc
	v_mov_b32_e32 v6, 0
.LBB11_91:
	s_or_b64 exec, exec, s[0:1]
.LBB11_92:
	s_or_b64 exec, exec, s[2:3]
	v_or_b32_e32 v8, s17, v4
	v_mov_b32_e32 v7, 0
	v_cmp_ne_u64_e32 vcc, 0, v[7:8]
                                        ; implicit-def: $vgpr7_vgpr8
	s_and_saveexec_b64 s[0:1], vcc
	s_xor_b64 s[2:3], exec, s[0:1]
	s_cbranch_execz .LBB11_94
; %bb.93:
	s_ashr_i32 s6, s17, 31
	s_add_u32 s0, s16, s6
	s_mov_b32 s7, s6
	s_addc_u32 s1, s17, s6
	s_xor_b64 s[12:13], s[0:1], s[6:7]
	v_cvt_f32_u32_e32 v1, s12
	v_cvt_f32_u32_e32 v7, s13
	s_sub_u32 s7, 0, s12
	s_subb_u32 s18, 0, s13
	v_madmk_f32 v1, v7, 0x4f800000, v1
	v_rcp_f32_e32 v1, v1
	v_mul_f32_e32 v1, 0x5f7ffffc, v1
	v_mul_f32_e32 v7, 0x2f800000, v1
	v_trunc_f32_e32 v7, v7
	v_madmk_f32 v1, v7, 0xcf800000, v1
	v_cvt_u32_f32_e32 v7, v7
	v_cvt_u32_f32_e32 v1, v1
	v_readfirstlane_b32 s19, v7
	v_readfirstlane_b32 s0, v1
	s_mul_i32 s1, s7, s19
	s_mul_hi_u32 s25, s7, s0
	s_mul_i32 s24, s18, s0
	s_add_i32 s1, s25, s1
	s_add_i32 s1, s1, s24
	s_mul_i32 s26, s7, s0
	s_mul_i32 s25, s0, s1
	s_mul_hi_u32 s27, s0, s26
	s_mul_hi_u32 s24, s0, s1
	s_add_u32 s25, s27, s25
	s_addc_u32 s24, 0, s24
	s_mul_hi_u32 s28, s19, s26
	s_mul_i32 s26, s19, s26
	s_add_u32 s25, s25, s26
	s_mul_hi_u32 s27, s19, s1
	s_addc_u32 s24, s24, s28
	s_addc_u32 s25, s27, 0
	s_mul_i32 s1, s19, s1
	s_add_u32 s1, s24, s1
	s_addc_u32 s24, 0, s25
	s_add_u32 s25, s0, s1
	s_cselect_b64 s[0:1], -1, 0
	s_cmp_lg_u64 s[0:1], 0
	s_addc_u32 s19, s19, s24
	s_mul_i32 s0, s7, s19
	s_mul_hi_u32 s1, s7, s25
	s_add_i32 s0, s1, s0
	s_mul_i32 s18, s18, s25
	s_add_i32 s0, s0, s18
	s_mul_i32 s7, s7, s25
	s_mul_hi_u32 s18, s19, s7
	s_mul_i32 s24, s19, s7
	s_mul_i32 s27, s25, s0
	s_mul_hi_u32 s7, s25, s7
	s_mul_hi_u32 s26, s25, s0
	s_add_u32 s7, s7, s27
	s_addc_u32 s26, 0, s26
	s_add_u32 s7, s7, s24
	s_mul_hi_u32 s1, s19, s0
	s_addc_u32 s7, s26, s18
	s_addc_u32 s1, s1, 0
	s_mul_i32 s0, s19, s0
	s_add_u32 s0, s7, s0
	s_addc_u32 s7, 0, s1
	s_add_u32 s18, s25, s0
	s_cselect_b64 s[0:1], -1, 0
	v_ashrrev_i32_e32 v1, 31, v4
	s_cmp_lg_u64 s[0:1], 0
	v_add_co_u32_e32 v7, vcc, v3, v1
	s_addc_u32 s7, s19, s7
	v_xor_b32_e32 v11, v7, v1
	v_mad_u64_u32 v[7:8], s[0:1], v11, s7, 0
	v_mul_hi_u32 v10, v11, s18
	v_addc_co_u32_e32 v9, vcc, v4, v1, vcc
	v_xor_b32_e32 v12, v9, v1
	v_add_co_u32_e32 v13, vcc, v10, v7
	v_addc_co_u32_e32 v14, vcc, 0, v8, vcc
	v_mad_u64_u32 v[7:8], s[0:1], v12, s18, 0
	v_mad_u64_u32 v[9:10], s[0:1], v12, s7, 0
	v_add_co_u32_e32 v7, vcc, v13, v7
	v_addc_co_u32_e32 v7, vcc, v14, v8, vcc
	v_addc_co_u32_e32 v8, vcc, 0, v10, vcc
	v_add_co_u32_e32 v9, vcc, v7, v9
	v_addc_co_u32_e32 v10, vcc, 0, v8, vcc
	v_mul_lo_u32 v13, s13, v9
	v_mul_lo_u32 v14, s12, v10
	v_mad_u64_u32 v[7:8], s[0:1], s12, v9, 0
	v_xor_b32_e32 v1, s6, v1
	v_add3_u32 v8, v8, v14, v13
	v_sub_u32_e32 v13, v12, v8
	v_mov_b32_e32 v14, s13
	v_sub_co_u32_e32 v7, vcc, v11, v7
	v_subb_co_u32_e64 v11, s[0:1], v13, v14, vcc
	v_subrev_co_u32_e64 v13, s[0:1], s12, v7
	v_subbrev_co_u32_e64 v11, s[0:1], 0, v11, s[0:1]
	v_cmp_le_u32_e64 s[0:1], s13, v11
	v_cndmask_b32_e64 v14, 0, -1, s[0:1]
	v_cmp_le_u32_e64 s[0:1], s12, v13
	v_cndmask_b32_e64 v13, 0, -1, s[0:1]
	v_cmp_eq_u32_e64 s[0:1], s13, v11
	v_cndmask_b32_e64 v11, v14, v13, s[0:1]
	v_add_co_u32_e64 v13, s[0:1], 2, v9
	v_subb_co_u32_e32 v8, vcc, v12, v8, vcc
	v_addc_co_u32_e64 v14, s[0:1], 0, v10, s[0:1]
	v_cmp_le_u32_e32 vcc, s13, v8
	v_add_co_u32_e64 v15, s[0:1], 1, v9
	v_cndmask_b32_e64 v12, 0, -1, vcc
	v_cmp_le_u32_e32 vcc, s12, v7
	v_addc_co_u32_e64 v16, s[0:1], 0, v10, s[0:1]
	v_cndmask_b32_e64 v7, 0, -1, vcc
	v_cmp_eq_u32_e32 vcc, s13, v8
	v_cmp_ne_u32_e64 s[0:1], 0, v11
	v_cndmask_b32_e32 v7, v12, v7, vcc
	v_cndmask_b32_e64 v11, v16, v14, s[0:1]
	v_cmp_ne_u32_e32 vcc, 0, v7
	v_cndmask_b32_e64 v8, v15, v13, s[0:1]
	v_cndmask_b32_e32 v7, v10, v11, vcc
	v_cndmask_b32_e32 v8, v9, v8, vcc
	v_xor_b32_e32 v9, v7, v1
	v_xor_b32_e32 v7, v8, v1
	v_sub_co_u32_e32 v7, vcc, v7, v1
	v_subb_co_u32_e32 v8, vcc, v9, v1, vcc
.LBB11_94:
	s_andn2_saveexec_b64 s[0:1], s[2:3]
	s_cbranch_execz .LBB11_96
; %bb.95:
	v_cvt_f32_u32_e32 v1, s16
	s_sub_i32 s2, 0, s16
	v_rcp_iflag_f32_e32 v1, v1
	v_mul_f32_e32 v1, 0x4f7ffffe, v1
	v_cvt_u32_f32_e32 v1, v1
	v_mul_lo_u32 v7, s2, v1
	v_mul_hi_u32 v7, v1, v7
	v_add_u32_e32 v1, v1, v7
	v_mul_hi_u32 v1, v3, v1
	v_mul_lo_u32 v7, v1, s16
	v_add_u32_e32 v8, 1, v1
	v_sub_u32_e32 v7, v3, v7
	v_subrev_u32_e32 v9, s16, v7
	v_cmp_le_u32_e32 vcc, s16, v7
	v_cndmask_b32_e32 v7, v7, v9, vcc
	v_cndmask_b32_e32 v1, v1, v8, vcc
	v_add_u32_e32 v8, 1, v1
	v_cmp_le_u32_e32 vcc, s16, v7
	v_cndmask_b32_e32 v7, v1, v8, vcc
	v_mov_b32_e32 v8, 0
.LBB11_96:
	s_or_b64 exec, exec, s[0:1]
	v_mul_lo_u32 v1, v6, s16
	v_mul_lo_u32 v11, v5, s17
	v_mad_u64_u32 v[9:10], s[0:1], v5, s16, 0
	v_add3_u32 v10, v10, v11, v1
	v_cmp_gt_i64_e32 vcc, v[9:10], v[3:4]
	v_mov_b32_e32 v1, s15
	v_add_co_u32_e64 v9, s[0:1], s14, v9
	v_addc_co_u32_e64 v10, s[0:1], v10, v1, s[0:1]
	v_cmp_ge_i64_e64 s[0:1], v[3:4], v[9:10]
	s_or_b64 s[0:1], vcc, s[0:1]
	v_cndmask_b32_e64 v1, 0, 1, s[0:1]
	v_add_co_u32_e32 v9, vcc, v5, v1
	v_addc_co_u32_e32 v10, vcc, 0, v6, vcc
	v_cmp_gt_i64_e32 vcc, s[4:5], v[7:8]
	v_mov_b32_e32 v1, s5
	v_cndmask_b32_e32 v6, v1, v8, vcc
	v_mov_b32_e32 v1, s4
	v_cndmask_b32_e32 v5, v1, v7, vcc
	v_cmp_le_i64_e32 vcc, v[9:10], v[5:6]
	s_and_b64 exec, exec, vcc
	s_cbranch_execz .LBB11_99
; %bb.97:
	global_load_ushort v11, v2, s[8:9]
	v_mul_lo_u32 v13, s17, v9
	v_mul_lo_u32 v14, s16, v10
	v_mad_u64_u32 v[7:8], s[0:1], s16, v9, 0
	v_mov_b32_e32 v12, s9
	v_add_co_u32_e32 v1, vcc, s8, v2
	v_addc_co_u32_e32 v2, vcc, 0, v12, vcc
	v_add3_u32 v8, v8, v14, v13
	v_sub_co_u32_e32 v3, vcc, v3, v7
	v_subb_co_u32_e32 v4, vcc, v4, v8, vcc
	v_mul_lo_u32 v14, s23, v3
	v_mul_lo_u32 v15, s22, v4
	v_mad_u64_u32 v[7:8], s[0:1], s22, v3, 0
	v_mul_lo_u32 v16, s21, v9
	v_mul_lo_u32 v17, s20, v10
	v_mad_u64_u32 v[12:13], s[0:1], s20, v9, 0
	v_add_co_u32_e32 v3, vcc, -1, v9
	v_add3_u32 v8, v8, v15, v14
	v_add3_u32 v13, v13, v17, v16
	v_addc_co_u32_e32 v4, vcc, -1, v10, vcc
	v_lshlrev_b64 v[7:8], 1, v[7:8]
	v_lshlrev_b64 v[9:10], 1, v[12:13]
	s_mul_i32 s2, s16, s23
	v_add_co_u32_e32 v7, vcc, v7, v9
	s_mul_hi_u32 s3, s16, s22
	v_addc_co_u32_e32 v8, vcc, v8, v10, vcc
	s_add_i32 s2, s3, s2
	s_mul_i32 s3, s17, s22
	v_add_co_u32_e32 v0, vcc, v7, v0
	s_add_i32 s3, s2, s3
	s_mul_i32 s2, s16, s22
	v_addc_co_u32_e32 v8, vcc, 0, v8, vcc
	s_lshl_b64 s[0:1], s[20:21], 1
	s_lshl_b64 s[2:3], s[2:3], 1
	v_mov_b32_e32 v9, s11
	v_add_co_u32_e32 v7, vcc, s10, v0
	s_sub_u32 s4, s0, s2
	v_addc_co_u32_e32 v8, vcc, v9, v8, vcc
	s_subb_u32 s5, s1, s3
	s_mov_b64 s[2:3], 0
	s_movk_i32 s6, 0x7fff
	v_mov_b32_e32 v0, 0x7fc0
.LBB11_98:                              ; =>This Inner Loop Header: Depth=1
	global_load_ushort v9, v[7:8], off
	s_waitcnt vmcnt(1)
	v_lshlrev_b32_e32 v10, 16, v11
	v_add_co_u32_e32 v3, vcc, 1, v3
	v_addc_co_u32_e32 v4, vcc, 0, v4, vcc
	v_mov_b32_e32 v11, s5
	v_add_co_u32_e32 v7, vcc, s4, v7
	v_cmp_ge_i64_e64 s[0:1], v[3:4], v[5:6]
	v_addc_co_u32_e32 v8, vcc, v8, v11, vcc
	s_or_b64 s[2:3], s[0:1], s[2:3]
	s_waitcnt vmcnt(0)
	v_lshlrev_b32_e32 v9, 16, v9
	v_add_f32_e32 v9, v10, v9
	v_bfe_u32 v10, v9, 16, 1
	v_add3_u32 v10, v9, v10, s6
	v_lshrrev_b32_e32 v10, 16, v10
	v_cmp_o_f32_e32 vcc, v9, v9
	v_cndmask_b32_e32 v11, v0, v10, vcc
	global_store_short v[1:2], v11, off
	s_andn2_b64 exec, exec, s[2:3]
	s_cbranch_execnz .LBB11_98
.LBB11_99:
	s_endpgm
	.section	.rodata,"a",@progbits
	.p2align	6, 0x0
	.amdhsa_kernel _ZN2at6native12_GLOBAL__N_135_unfold_backward_elementwise_kernelILi256ELi4EZNS1_32_unfold_backward_internal_kernelIN3c108BFloat16EEEvRNS_14TensorIteratorEllllllEUliE_EEviT1_
		.amdhsa_group_segment_fixed_size 0
		.amdhsa_private_segment_fixed_size 0
		.amdhsa_kernarg_size 464
		.amdhsa_user_sgpr_count 6
		.amdhsa_user_sgpr_private_segment_buffer 1
		.amdhsa_user_sgpr_dispatch_ptr 0
		.amdhsa_user_sgpr_queue_ptr 0
		.amdhsa_user_sgpr_kernarg_segment_ptr 1
		.amdhsa_user_sgpr_dispatch_id 0
		.amdhsa_user_sgpr_flat_scratch_init 0
		.amdhsa_user_sgpr_private_segment_size 0
		.amdhsa_uses_dynamic_stack 0
		.amdhsa_system_sgpr_private_segment_wavefront_offset 0
		.amdhsa_system_sgpr_workgroup_id_x 1
		.amdhsa_system_sgpr_workgroup_id_y 0
		.amdhsa_system_sgpr_workgroup_id_z 0
		.amdhsa_system_sgpr_workgroup_info 0
		.amdhsa_system_vgpr_workitem_id 0
		.amdhsa_next_free_vgpr 19
		.amdhsa_next_free_sgpr 58
		.amdhsa_reserve_vcc 1
		.amdhsa_reserve_flat_scratch 0
		.amdhsa_float_round_mode_32 0
		.amdhsa_float_round_mode_16_64 0
		.amdhsa_float_denorm_mode_32 3
		.amdhsa_float_denorm_mode_16_64 3
		.amdhsa_dx10_clamp 1
		.amdhsa_ieee_mode 1
		.amdhsa_fp16_overflow 0
		.amdhsa_exception_fp_ieee_invalid_op 0
		.amdhsa_exception_fp_denorm_src 0
		.amdhsa_exception_fp_ieee_div_zero 0
		.amdhsa_exception_fp_ieee_overflow 0
		.amdhsa_exception_fp_ieee_underflow 0
		.amdhsa_exception_fp_ieee_inexact 0
		.amdhsa_exception_int_div_zero 0
	.end_amdhsa_kernel
	.section	.text._ZN2at6native12_GLOBAL__N_135_unfold_backward_elementwise_kernelILi256ELi4EZNS1_32_unfold_backward_internal_kernelIN3c108BFloat16EEEvRNS_14TensorIteratorEllllllEUliE_EEviT1_,"axG",@progbits,_ZN2at6native12_GLOBAL__N_135_unfold_backward_elementwise_kernelILi256ELi4EZNS1_32_unfold_backward_internal_kernelIN3c108BFloat16EEEvRNS_14TensorIteratorEllllllEUliE_EEviT1_,comdat
.Lfunc_end11:
	.size	_ZN2at6native12_GLOBAL__N_135_unfold_backward_elementwise_kernelILi256ELi4EZNS1_32_unfold_backward_internal_kernelIN3c108BFloat16EEEvRNS_14TensorIteratorEllllllEUliE_EEviT1_, .Lfunc_end11-_ZN2at6native12_GLOBAL__N_135_unfold_backward_elementwise_kernelILi256ELi4EZNS1_32_unfold_backward_internal_kernelIN3c108BFloat16EEEvRNS_14TensorIteratorEllllllEUliE_EEviT1_
                                        ; -- End function
	.set _ZN2at6native12_GLOBAL__N_135_unfold_backward_elementwise_kernelILi256ELi4EZNS1_32_unfold_backward_internal_kernelIN3c108BFloat16EEEvRNS_14TensorIteratorEllllllEUliE_EEviT1_.num_vgpr, 19
	.set _ZN2at6native12_GLOBAL__N_135_unfold_backward_elementwise_kernelILi256ELi4EZNS1_32_unfold_backward_internal_kernelIN3c108BFloat16EEEvRNS_14TensorIteratorEllllllEUliE_EEviT1_.num_agpr, 0
	.set _ZN2at6native12_GLOBAL__N_135_unfold_backward_elementwise_kernelILi256ELi4EZNS1_32_unfold_backward_internal_kernelIN3c108BFloat16EEEvRNS_14TensorIteratorEllllllEUliE_EEviT1_.numbered_sgpr, 58
	.set _ZN2at6native12_GLOBAL__N_135_unfold_backward_elementwise_kernelILi256ELi4EZNS1_32_unfold_backward_internal_kernelIN3c108BFloat16EEEvRNS_14TensorIteratorEllllllEUliE_EEviT1_.num_named_barrier, 0
	.set _ZN2at6native12_GLOBAL__N_135_unfold_backward_elementwise_kernelILi256ELi4EZNS1_32_unfold_backward_internal_kernelIN3c108BFloat16EEEvRNS_14TensorIteratorEllllllEUliE_EEviT1_.private_seg_size, 0
	.set _ZN2at6native12_GLOBAL__N_135_unfold_backward_elementwise_kernelILi256ELi4EZNS1_32_unfold_backward_internal_kernelIN3c108BFloat16EEEvRNS_14TensorIteratorEllllllEUliE_EEviT1_.uses_vcc, 1
	.set _ZN2at6native12_GLOBAL__N_135_unfold_backward_elementwise_kernelILi256ELi4EZNS1_32_unfold_backward_internal_kernelIN3c108BFloat16EEEvRNS_14TensorIteratorEllllllEUliE_EEviT1_.uses_flat_scratch, 0
	.set _ZN2at6native12_GLOBAL__N_135_unfold_backward_elementwise_kernelILi256ELi4EZNS1_32_unfold_backward_internal_kernelIN3c108BFloat16EEEvRNS_14TensorIteratorEllllllEUliE_EEviT1_.has_dyn_sized_stack, 0
	.set _ZN2at6native12_GLOBAL__N_135_unfold_backward_elementwise_kernelILi256ELi4EZNS1_32_unfold_backward_internal_kernelIN3c108BFloat16EEEvRNS_14TensorIteratorEllllllEUliE_EEviT1_.has_recursion, 0
	.set _ZN2at6native12_GLOBAL__N_135_unfold_backward_elementwise_kernelILi256ELi4EZNS1_32_unfold_backward_internal_kernelIN3c108BFloat16EEEvRNS_14TensorIteratorEllllllEUliE_EEviT1_.has_indirect_call, 0
	.section	.AMDGPU.csdata,"",@progbits
; Kernel info:
; codeLenInByte = 10168
; TotalNumSgprs: 62
; NumVgprs: 19
; ScratchSize: 0
; MemoryBound: 0
; FloatMode: 240
; IeeeMode: 1
; LDSByteSize: 0 bytes/workgroup (compile time only)
; SGPRBlocks: 7
; VGPRBlocks: 4
; NumSGPRsForWavesPerEU: 62
; NumVGPRsForWavesPerEU: 19
; Occupancy: 10
; WaveLimiterHint : 1
; COMPUTE_PGM_RSRC2:SCRATCH_EN: 0
; COMPUTE_PGM_RSRC2:USER_SGPR: 6
; COMPUTE_PGM_RSRC2:TRAP_HANDLER: 0
; COMPUTE_PGM_RSRC2:TGID_X_EN: 1
; COMPUTE_PGM_RSRC2:TGID_Y_EN: 0
; COMPUTE_PGM_RSRC2:TGID_Z_EN: 0
; COMPUTE_PGM_RSRC2:TIDIG_COMP_CNT: 0
	.section	.AMDGPU.gpr_maximums,"",@progbits
	.set amdgpu.max_num_vgpr, 0
	.set amdgpu.max_num_agpr, 0
	.set amdgpu.max_num_sgpr, 0
	.section	.AMDGPU.csdata,"",@progbits
	.type	__hip_cuid_c6185740cf564d18,@object ; @__hip_cuid_c6185740cf564d18
	.section	.bss,"aw",@nobits
	.globl	__hip_cuid_c6185740cf564d18
__hip_cuid_c6185740cf564d18:
	.byte	0                               ; 0x0
	.size	__hip_cuid_c6185740cf564d18, 1

	.ident	"AMD clang version 22.0.0git (https://github.com/RadeonOpenCompute/llvm-project roc-7.2.4 26084 f58b06dce1f9c15707c5f808fd002e18c2accf7e)"
	.section	".note.GNU-stack","",@progbits
	.addrsig
	.addrsig_sym __hip_cuid_c6185740cf564d18
	.amdgpu_metadata
---
amdhsa.kernels:
  - .args:
      - .offset:         0
        .size:           4
        .value_kind:     by_value
      - .offset:         8
        .size:           456
        .value_kind:     by_value
    .group_segment_fixed_size: 0
    .kernarg_segment_align: 8
    .kernarg_segment_size: 464
    .language:       OpenCL C
    .language_version:
      - 2
      - 0
    .max_flat_workgroup_size: 256
    .name:           _ZN2at6native12_GLOBAL__N_135_unfold_backward_elementwise_kernelILi256ELi4EZNS1_32_unfold_backward_internal_kernelIhEEvRNS_14TensorIteratorEllllllEUliE_EEviT1_
    .private_segment_fixed_size: 0
    .sgpr_count:     62
    .sgpr_spill_count: 0
    .symbol:         _ZN2at6native12_GLOBAL__N_135_unfold_backward_elementwise_kernelILi256ELi4EZNS1_32_unfold_backward_internal_kernelIhEEvRNS_14TensorIteratorEllllllEUliE_EEviT1_.kd
    .uniform_work_group_size: 1
    .uses_dynamic_stack: false
    .vgpr_count:     18
    .vgpr_spill_count: 0
    .wavefront_size: 64
  - .args:
      - .offset:         0
        .size:           4
        .value_kind:     by_value
      - .offset:         8
        .size:           456
        .value_kind:     by_value
    .group_segment_fixed_size: 0
    .kernarg_segment_align: 8
    .kernarg_segment_size: 464
    .language:       OpenCL C
    .language_version:
      - 2
      - 0
    .max_flat_workgroup_size: 256
    .name:           _ZN2at6native12_GLOBAL__N_135_unfold_backward_elementwise_kernelILi256ELi4EZNS1_32_unfold_backward_internal_kernelIaEEvRNS_14TensorIteratorEllllllEUliE_EEviT1_
    .private_segment_fixed_size: 0
    .sgpr_count:     62
    .sgpr_spill_count: 0
    .symbol:         _ZN2at6native12_GLOBAL__N_135_unfold_backward_elementwise_kernelILi256ELi4EZNS1_32_unfold_backward_internal_kernelIaEEvRNS_14TensorIteratorEllllllEUliE_EEviT1_.kd
    .uniform_work_group_size: 1
    .uses_dynamic_stack: false
    .vgpr_count:     18
    .vgpr_spill_count: 0
    .wavefront_size: 64
  - .args:
      - .offset:         0
        .size:           4
        .value_kind:     by_value
      - .offset:         8
        .size:           456
        .value_kind:     by_value
    .group_segment_fixed_size: 0
    .kernarg_segment_align: 8
    .kernarg_segment_size: 464
    .language:       OpenCL C
    .language_version:
      - 2
      - 0
    .max_flat_workgroup_size: 256
    .name:           _ZN2at6native12_GLOBAL__N_135_unfold_backward_elementwise_kernelILi256ELi4EZNS1_32_unfold_backward_internal_kernelIiEEvRNS_14TensorIteratorEllllllEUliE_EEviT1_
    .private_segment_fixed_size: 0
    .sgpr_count:     62
    .sgpr_spill_count: 0
    .symbol:         _ZN2at6native12_GLOBAL__N_135_unfold_backward_elementwise_kernelILi256ELi4EZNS1_32_unfold_backward_internal_kernelIiEEvRNS_14TensorIteratorEllllllEUliE_EEviT1_.kd
    .uniform_work_group_size: 1
    .uses_dynamic_stack: false
    .vgpr_count:     19
    .vgpr_spill_count: 0
    .wavefront_size: 64
  - .args:
      - .offset:         0
        .size:           4
        .value_kind:     by_value
      - .offset:         8
        .size:           456
        .value_kind:     by_value
    .group_segment_fixed_size: 0
    .kernarg_segment_align: 8
    .kernarg_segment_size: 464
    .language:       OpenCL C
    .language_version:
      - 2
      - 0
    .max_flat_workgroup_size: 256
    .name:           _ZN2at6native12_GLOBAL__N_135_unfold_backward_elementwise_kernelILi256ELi4EZNS1_32_unfold_backward_internal_kernelIlEEvRNS_14TensorIteratorEllllllEUliE_EEviT1_
    .private_segment_fixed_size: 0
    .sgpr_count:     62
    .sgpr_spill_count: 0
    .symbol:         _ZN2at6native12_GLOBAL__N_135_unfold_backward_elementwise_kernelILi256ELi4EZNS1_32_unfold_backward_internal_kernelIlEEvRNS_14TensorIteratorEllllllEUliE_EEviT1_.kd
    .uniform_work_group_size: 1
    .uses_dynamic_stack: false
    .vgpr_count:     20
    .vgpr_spill_count: 0
    .wavefront_size: 64
  - .args:
      - .offset:         0
        .size:           4
        .value_kind:     by_value
      - .offset:         8
        .size:           456
        .value_kind:     by_value
    .group_segment_fixed_size: 0
    .kernarg_segment_align: 8
    .kernarg_segment_size: 464
    .language:       OpenCL C
    .language_version:
      - 2
      - 0
    .max_flat_workgroup_size: 256
    .name:           _ZN2at6native12_GLOBAL__N_135_unfold_backward_elementwise_kernelILi256ELi4EZNS1_32_unfold_backward_internal_kernelIsEEvRNS_14TensorIteratorEllllllEUliE_EEviT1_
    .private_segment_fixed_size: 0
    .sgpr_count:     62
    .sgpr_spill_count: 0
    .symbol:         _ZN2at6native12_GLOBAL__N_135_unfold_backward_elementwise_kernelILi256ELi4EZNS1_32_unfold_backward_internal_kernelIsEEvRNS_14TensorIteratorEllllllEUliE_EEviT1_.kd
    .uniform_work_group_size: 1
    .uses_dynamic_stack: false
    .vgpr_count:     19
    .vgpr_spill_count: 0
    .wavefront_size: 64
  - .args:
      - .offset:         0
        .size:           4
        .value_kind:     by_value
      - .offset:         8
        .size:           456
        .value_kind:     by_value
    .group_segment_fixed_size: 0
    .kernarg_segment_align: 8
    .kernarg_segment_size: 464
    .language:       OpenCL C
    .language_version:
      - 2
      - 0
    .max_flat_workgroup_size: 256
    .name:           _ZN2at6native12_GLOBAL__N_135_unfold_backward_elementwise_kernelILi256ELi4EZNS1_32_unfold_backward_internal_kernelIdEEvRNS_14TensorIteratorEllllllEUliE_EEviT1_
    .private_segment_fixed_size: 0
    .sgpr_count:     62
    .sgpr_spill_count: 0
    .symbol:         _ZN2at6native12_GLOBAL__N_135_unfold_backward_elementwise_kernelILi256ELi4EZNS1_32_unfold_backward_internal_kernelIdEEvRNS_14TensorIteratorEllllllEUliE_EEviT1_.kd
    .uniform_work_group_size: 1
    .uses_dynamic_stack: false
    .vgpr_count:     20
    .vgpr_spill_count: 0
    .wavefront_size: 64
  - .args:
      - .offset:         0
        .size:           4
        .value_kind:     by_value
      - .offset:         8
        .size:           456
        .value_kind:     by_value
    .group_segment_fixed_size: 0
    .kernarg_segment_align: 8
    .kernarg_segment_size: 464
    .language:       OpenCL C
    .language_version:
      - 2
      - 0
    .max_flat_workgroup_size: 256
    .name:           _ZN2at6native12_GLOBAL__N_135_unfold_backward_elementwise_kernelILi256ELi4EZNS1_32_unfold_backward_internal_kernelIfEEvRNS_14TensorIteratorEllllllEUliE_EEviT1_
    .private_segment_fixed_size: 0
    .sgpr_count:     62
    .sgpr_spill_count: 0
    .symbol:         _ZN2at6native12_GLOBAL__N_135_unfold_backward_elementwise_kernelILi256ELi4EZNS1_32_unfold_backward_internal_kernelIfEEvRNS_14TensorIteratorEllllllEUliE_EEviT1_.kd
    .uniform_work_group_size: 1
    .uses_dynamic_stack: false
    .vgpr_count:     19
    .vgpr_spill_count: 0
    .wavefront_size: 64
  - .args:
      - .offset:         0
        .size:           4
        .value_kind:     by_value
      - .offset:         8
        .size:           456
        .value_kind:     by_value
    .group_segment_fixed_size: 0
    .kernarg_segment_align: 8
    .kernarg_segment_size: 464
    .language:       OpenCL C
    .language_version:
      - 2
      - 0
    .max_flat_workgroup_size: 256
    .name:           _ZN2at6native12_GLOBAL__N_135_unfold_backward_elementwise_kernelILi256ELi4EZNS1_32_unfold_backward_internal_kernelIN3c107complexIdEEEEvRNS_14TensorIteratorEllllllEUliE_EEviT1_
    .private_segment_fixed_size: 0
    .sgpr_count:     62
    .sgpr_spill_count: 0
    .symbol:         _ZN2at6native12_GLOBAL__N_135_unfold_backward_elementwise_kernelILi256ELi4EZNS1_32_unfold_backward_internal_kernelIN3c107complexIdEEEEvRNS_14TensorIteratorEllllllEUliE_EEviT1_.kd
    .uniform_work_group_size: 1
    .uses_dynamic_stack: false
    .vgpr_count:     22
    .vgpr_spill_count: 0
    .wavefront_size: 64
  - .args:
      - .offset:         0
        .size:           4
        .value_kind:     by_value
      - .offset:         8
        .size:           456
        .value_kind:     by_value
    .group_segment_fixed_size: 0
    .kernarg_segment_align: 8
    .kernarg_segment_size: 464
    .language:       OpenCL C
    .language_version:
      - 2
      - 0
    .max_flat_workgroup_size: 256
    .name:           _ZN2at6native12_GLOBAL__N_135_unfold_backward_elementwise_kernelILi256ELi4EZNS1_32_unfold_backward_internal_kernelIN3c107complexIfEEEEvRNS_14TensorIteratorEllllllEUliE_EEviT1_
    .private_segment_fixed_size: 0
    .sgpr_count:     62
    .sgpr_spill_count: 0
    .symbol:         _ZN2at6native12_GLOBAL__N_135_unfold_backward_elementwise_kernelILi256ELi4EZNS1_32_unfold_backward_internal_kernelIN3c107complexIfEEEEvRNS_14TensorIteratorEllllllEUliE_EEviT1_.kd
    .uniform_work_group_size: 1
    .uses_dynamic_stack: false
    .vgpr_count:     20
    .vgpr_spill_count: 0
    .wavefront_size: 64
  - .args:
      - .offset:         0
        .size:           4
        .value_kind:     by_value
      - .offset:         8
        .size:           456
        .value_kind:     by_value
    .group_segment_fixed_size: 0
    .kernarg_segment_align: 8
    .kernarg_segment_size: 464
    .language:       OpenCL C
    .language_version:
      - 2
      - 0
    .max_flat_workgroup_size: 256
    .name:           _ZN2at6native12_GLOBAL__N_135_unfold_backward_elementwise_kernelILi256ELi4EZNS1_32_unfold_backward_internal_kernelIN3c104HalfEEEvRNS_14TensorIteratorEllllllEUliE_EEviT1_
    .private_segment_fixed_size: 0
    .sgpr_count:     62
    .sgpr_spill_count: 0
    .symbol:         _ZN2at6native12_GLOBAL__N_135_unfold_backward_elementwise_kernelILi256ELi4EZNS1_32_unfold_backward_internal_kernelIN3c104HalfEEEvRNS_14TensorIteratorEllllllEUliE_EEviT1_.kd
    .uniform_work_group_size: 1
    .uses_dynamic_stack: false
    .vgpr_count:     19
    .vgpr_spill_count: 0
    .wavefront_size: 64
  - .args:
      - .offset:         0
        .size:           4
        .value_kind:     by_value
      - .offset:         8
        .size:           456
        .value_kind:     by_value
    .group_segment_fixed_size: 0
    .kernarg_segment_align: 8
    .kernarg_segment_size: 464
    .language:       OpenCL C
    .language_version:
      - 2
      - 0
    .max_flat_workgroup_size: 256
    .name:           _ZN2at6native12_GLOBAL__N_135_unfold_backward_elementwise_kernelILi256ELi4EZNS1_32_unfold_backward_internal_kernelIbEEvRNS_14TensorIteratorEllllllEUliE_EEviT1_
    .private_segment_fixed_size: 0
    .sgpr_count:     62
    .sgpr_spill_count: 0
    .symbol:         _ZN2at6native12_GLOBAL__N_135_unfold_backward_elementwise_kernelILi256ELi4EZNS1_32_unfold_backward_internal_kernelIbEEvRNS_14TensorIteratorEllllllEUliE_EEviT1_.kd
    .uniform_work_group_size: 1
    .uses_dynamic_stack: false
    .vgpr_count:     18
    .vgpr_spill_count: 0
    .wavefront_size: 64
  - .args:
      - .offset:         0
        .size:           4
        .value_kind:     by_value
      - .offset:         8
        .size:           456
        .value_kind:     by_value
    .group_segment_fixed_size: 0
    .kernarg_segment_align: 8
    .kernarg_segment_size: 464
    .language:       OpenCL C
    .language_version:
      - 2
      - 0
    .max_flat_workgroup_size: 256
    .name:           _ZN2at6native12_GLOBAL__N_135_unfold_backward_elementwise_kernelILi256ELi4EZNS1_32_unfold_backward_internal_kernelIN3c108BFloat16EEEvRNS_14TensorIteratorEllllllEUliE_EEviT1_
    .private_segment_fixed_size: 0
    .sgpr_count:     62
    .sgpr_spill_count: 0
    .symbol:         _ZN2at6native12_GLOBAL__N_135_unfold_backward_elementwise_kernelILi256ELi4EZNS1_32_unfold_backward_internal_kernelIN3c108BFloat16EEEvRNS_14TensorIteratorEllllllEUliE_EEviT1_.kd
    .uniform_work_group_size: 1
    .uses_dynamic_stack: false
    .vgpr_count:     19
    .vgpr_spill_count: 0
    .wavefront_size: 64
amdhsa.target:   amdgcn-amd-amdhsa--gfx906
amdhsa.version:
  - 1
  - 2
...

	.end_amdgpu_metadata
